;; amdgpu-corpus repo=ROCm/rocFFT kind=compiled arch=gfx1030 opt=O3
	.text
	.amdgcn_target "amdgcn-amd-amdhsa--gfx1030"
	.amdhsa_code_object_version 6
	.protected	bluestein_single_back_len1764_dim1_sp_op_CI_CI ; -- Begin function bluestein_single_back_len1764_dim1_sp_op_CI_CI
	.globl	bluestein_single_back_len1764_dim1_sp_op_CI_CI
	.p2align	8
	.type	bluestein_single_back_len1764_dim1_sp_op_CI_CI,@function
bluestein_single_back_len1764_dim1_sp_op_CI_CI: ; @bluestein_single_back_len1764_dim1_sp_op_CI_CI
; %bb.0:
	s_load_dwordx4 s[8:11], s[4:5], 0x28
	v_mul_u32_u24_e32 v1, 0x209, v0
	v_mov_b32_e32 v97, 0
	s_mov_b32 s0, exec_lo
	v_lshrrev_b32_e32 v1, 16, v1
	v_add_nc_u32_e32 v96, s6, v1
	s_waitcnt lgkmcnt(0)
	v_cmpx_gt_u64_e64 s[8:9], v[96:97]
	s_cbranch_execz .LBB0_18
; %bb.1:
	s_clause 0x1
	s_load_dwordx4 s[0:3], s[4:5], 0x18
	s_load_dwordx4 s[12:15], s[4:5], 0x0
	v_mul_lo_u16 v1, 0x7e, v1
	v_sub_nc_u16 v0, v0, v1
	v_and_b32_e32 v137, 0xffff, v0
	v_lshlrev_b32_e32 v138, 3, v137
	v_and_b32_e32 v50, 1, v137
	v_add_co_u32 v57, null, 0x1f8, v137
	s_waitcnt lgkmcnt(0)
	s_load_dwordx4 s[16:19], s[0:1], 0x0
	v_add_co_u32 v15, s0, s12, v138
	v_add_co_ci_u32_e64 v16, null, s13, 0, s0
	s_clause 0x2
	global_load_dwordx2 v[113:114], v138, s[12:13]
	global_load_dwordx2 v[111:112], v138, s[12:13] offset:1008
	global_load_dwordx2 v[107:108], v138, s[12:13] offset:2016
	v_add_co_u32 v1, vcc_lo, 0x1800, v15
	v_add_co_ci_u32_e32 v2, vcc_lo, 0, v16, vcc_lo
	v_add_co_u32 v3, vcc_lo, 0x2000, v15
	v_add_co_ci_u32_e32 v4, vcc_lo, 0, v16, vcc_lo
	v_add_co_u32 v5, vcc_lo, 0x800, v15
	v_add_co_ci_u32_e32 v6, vcc_lo, 0, v16, vcc_lo
	v_add_co_u32 v7, vcc_lo, 0x2800, v15
	s_waitcnt lgkmcnt(0)
	v_mad_u64_u32 v[9:10], null, s18, v96, 0
	v_mad_u64_u32 v[13:14], null, s16, v137, 0
	v_add_co_ci_u32_e32 v8, vcc_lo, 0, v16, vcc_lo
	v_add_co_u32 v11, vcc_lo, 0x1000, v15
	s_clause 0x1
	global_load_dwordx2 v[123:124], v[1:2], off offset:912
	global_load_dwordx2 v[121:122], v[1:2], off offset:1920
	v_add_co_ci_u32_e32 v12, vcc_lo, 0, v16, vcc_lo
	v_mov_b32_e32 v1, v14
	v_mad_u64_u32 v[17:18], null, s19, v96, v[10:11]
	v_add_co_u32 v15, vcc_lo, 0x3000, v15
	v_mad_u64_u32 v[1:2], null, s17, v137, v[1:2]
	v_add_co_ci_u32_e32 v16, vcc_lo, 0, v16, vcc_lo
	v_mov_b32_e32 v10, v17
	s_clause 0x1
	global_load_dwordx2 v[119:120], v[3:4], off offset:880
	global_load_dwordx2 v[115:116], v[3:4], off offset:1888
	s_mul_i32 s0, s17, 0x1b90
	s_mul_hi_u32 s1, s16, 0x1b90
	v_mov_b32_e32 v14, v1
	v_lshlrev_b64 v[1:2], 3, v[9:10]
	s_mul_i32 s6, s16, 0x1b90
	s_add_i32 s1, s1, s0
	s_mul_hi_u32 s8, s16, 0xffffe860
	v_lshlrev_b64 v[3:4], 3, v[13:14]
	s_mul_i32 s7, s17, 0xffffe860
	v_add_co_u32 v1, vcc_lo, s10, v1
	v_add_co_ci_u32_e32 v2, vcc_lo, s11, v2, vcc_lo
	s_mul_i32 s9, s16, 0xffffe860
	v_add_co_u32 v1, vcc_lo, v1, v3
	v_add_co_ci_u32_e32 v2, vcc_lo, v2, v4, vcc_lo
	s_sub_i32 s0, s8, s16
	v_add_co_u32 v3, vcc_lo, v1, s6
	v_add_co_ci_u32_e32 v4, vcc_lo, s1, v2, vcc_lo
	s_clause 0x2
	global_load_dwordx2 v[117:118], v[5:6], off offset:976
	global_load_dwordx2 v[105:106], v[5:6], off offset:1984
	;; [unrolled: 1-line block ×3, first 2 shown]
	s_add_i32 s0, s0, s7
	v_add_co_u32 v5, vcc_lo, v3, s9
	v_add_co_ci_u32_e32 v6, vcc_lo, s0, v4, vcc_lo
	s_clause 0x1
	global_load_dwordx2 v[109:110], v[7:8], off offset:848
	global_load_dwordx2 v[97:98], v[7:8], off offset:1856
	v_add_co_u32 v7, vcc_lo, v5, s6
	v_add_co_ci_u32_e32 v8, vcc_lo, s1, v6, vcc_lo
	s_clause 0x1
	global_load_dwordx2 v[1:2], v[1:2], off
	global_load_dwordx2 v[3:4], v[3:4], off
	v_add_co_u32 v9, vcc_lo, v7, s9
	v_add_co_ci_u32_e32 v10, vcc_lo, s0, v8, vcc_lo
	global_load_dwordx2 v[5:6], v[5:6], off
	v_add_co_u32 v13, vcc_lo, v9, s6
	v_add_co_ci_u32_e32 v14, vcc_lo, s1, v10, vcc_lo
	s_clause 0x1
	global_load_dwordx2 v[7:8], v[7:8], off
	global_load_dwordx2 v[9:10], v[9:10], off
	v_add_co_u32 v17, vcc_lo, v13, s9
	v_add_co_ci_u32_e32 v18, vcc_lo, s0, v14, vcc_lo
	global_load_dwordx2 v[13:14], v[13:14], off
	v_add_co_u32 v19, vcc_lo, v17, s6
	v_add_co_ci_u32_e32 v20, vcc_lo, s1, v18, vcc_lo
	;; [unrolled: 3-line block ×8, first 2 shown]
	global_load_dwordx2 v[101:102], v[11:12], off offset:1952
	global_load_dwordx2 v[11:12], v[29:30], off
	global_load_dwordx2 v[103:104], v[15:16], off offset:816
	global_load_dwordx2 v[15:16], v[31:32], off
	v_add_co_u32 v54, s0, 0x7e, v137
	v_add_co_ci_u32_e64 v29, null, 0, 0, s0
	v_add_co_u32 v55, s0, 0xfc, v137
	v_add_co_ci_u32_e64 v29, null, 0, 0, s0
	;; [unrolled: 2-line block ×3, first 2 shown]
	v_add_nc_u32_e32 v43, 0x1c00, v138
	v_add_nc_u32_e32 v44, 0x400, v138
	;; [unrolled: 1-line block ×6, first 2 shown]
	s_load_dwordx4 s[8:11], s[2:3], 0x0
	v_lshlrev_b32_e32 v49, 1, v137
	v_lshlrev_b32_e32 v74, 4, v137
	;; [unrolled: 1-line block ×8, first 2 shown]
	v_add_nc_u32_e32 v58, 0x4ec, v49
	v_add_nc_u32_e32 v59, 0x5e8, v49
	s_load_dwordx2 s[2:3], s[4:5], 0x38
	v_cmp_gt_u16_e32 vcc_lo, 0x54, v0
	s_waitcnt vmcnt(15)
	v_mul_f32_e32 v29, v2, v114
	v_mul_f32_e32 v30, v1, v114
	s_waitcnt vmcnt(14)
	v_mul_f32_e32 v32, v3, v124
	v_fmac_f32_e32 v29, v1, v113
	v_mul_f32_e32 v1, v4, v124
	s_waitcnt vmcnt(13)
	v_mul_f32_e32 v33, v5, v112
	v_fma_f32 v30, v2, v113, -v30
	v_fma_f32 v2, v4, v123, -v32
	v_mul_f32_e32 v31, v6, v112
	v_fmac_f32_e32 v1, v3, v123
	v_fma_f32 v32, v6, v111, -v33
	s_waitcnt vmcnt(12)
	v_mul_f32_e32 v3, v8, v122
	v_fmac_f32_e32 v31, v5, v111
	ds_write_b64 v138, v[1:2] offset:7056
	v_mul_f32_e32 v2, v7, v122
	s_waitcnt vmcnt(10)
	v_mul_f32_e32 v1, v14, v120
	v_mul_f32_e32 v6, v13, v120
	v_fmac_f32_e32 v3, v7, v121
	v_mul_f32_e32 v5, v10, v108
	v_fma_f32 v4, v8, v121, -v2
	v_fmac_f32_e32 v1, v13, v119
	v_fma_f32 v2, v14, v119, -v6
	v_mul_f32_e32 v8, v9, v108
	ds_write2_b64 v138, v[29:30], v[31:32] offset1:126
	s_waitcnt vmcnt(9)
	v_mul_f32_e32 v7, v18, v118
	v_fmac_f32_e32 v5, v9, v107
	ds_write2_b64 v43, v[3:4], v[1:2] offset0:112 offset1:238
	s_waitcnt vmcnt(8)
	v_mul_f32_e32 v1, v20, v116
	v_mul_f32_e32 v2, v19, v116
	v_fma_f32 v6, v10, v107, -v8
	v_mul_f32_e32 v8, v17, v118
	s_waitcnt vmcnt(7)
	v_mul_f32_e32 v3, v22, v106
	v_mul_f32_e32 v4, v21, v106
	s_waitcnt vmcnt(6)
	v_mul_f32_e32 v9, v24, v110
	v_mul_f32_e32 v10, v23, v110
	v_fmac_f32_e32 v1, v19, v115
	v_fma_f32 v2, v20, v115, -v2
	v_fmac_f32_e32 v7, v17, v117
	s_waitcnt vmcnt(5)
	v_mul_f32_e32 v13, v26, v100
	v_mul_f32_e32 v14, v25, v100
	v_fma_f32 v8, v18, v117, -v8
	v_fmac_f32_e32 v3, v21, v105
	v_fma_f32 v4, v22, v105, -v4
	s_waitcnt vmcnt(4)
	v_mul_f32_e32 v17, v28, v98
	v_mul_f32_e32 v18, v27, v98
	v_fmac_f32_e32 v9, v23, v109
	s_waitcnt vmcnt(2)
	v_mul_f32_e32 v19, v12, v102
	v_mul_f32_e32 v20, v11, v102
	s_waitcnt vmcnt(0)
	v_mul_f32_e32 v21, v16, v104
	v_mul_f32_e32 v22, v15, v104
	v_fma_f32 v10, v24, v109, -v10
	v_fmac_f32_e32 v13, v25, v99
	v_fma_f32 v14, v26, v99, -v14
	v_fmac_f32_e32 v19, v11, v101
	;; [unrolled: 2-line block ×4, first 2 shown]
	v_fma_f32 v22, v16, v103, -v22
	ds_write2_b64 v44, v[5:6], v[7:8] offset0:124 offset1:250
	ds_write2_b64 v45, v[1:2], v[9:10] offset0:108 offset1:234
	;; [unrolled: 1-line block ×3, first 2 shown]
	ds_write_b64 v138, v[19:20] offset:6048
	ds_write2_b64 v47, v[17:18], v[21:22] offset0:104 offset1:230
	s_waitcnt lgkmcnt(0)
	s_barrier
	buffer_gl0_inv
	ds_read2_b64 v[1:4], v138 offset1:126
	ds_read2_b64 v[5:8], v48 offset0:116 offset1:242
	ds_read2_b64 v[9:12], v43 offset0:112 offset1:238
	ds_read2_b64 v[13:16], v44 offset0:124 offset1:250
	ds_read2_b64 v[17:20], v45 offset0:108 offset1:234
	ds_read2_b64 v[21:24], v46 offset0:120 offset1:246
	ds_read2_b64 v[25:28], v47 offset0:104 offset1:230
	s_waitcnt lgkmcnt(0)
	s_barrier
	buffer_gl0_inv
	v_sub_f32_e32 v29, v1, v7
	v_sub_f32_e32 v30, v2, v8
	v_sub_f32_e32 v9, v3, v9
	v_sub_f32_e32 v10, v4, v10
	v_sub_f32_e32 v33, v13, v11
	v_sub_f32_e32 v34, v14, v12
	v_sub_f32_e32 v17, v15, v17
	v_sub_f32_e32 v18, v16, v18
	v_sub_f32_e32 v37, v21, v19
	v_sub_f32_e32 v38, v22, v20
	v_sub_f32_e32 v25, v23, v25
	v_sub_f32_e32 v26, v24, v26
	v_sub_f32_e32 v41, v5, v27
	v_sub_f32_e32 v42, v6, v28
	v_fma_f32 v27, v1, 2.0, -v29
	v_fma_f32 v28, v2, 2.0, -v30
	;; [unrolled: 1-line block ×14, first 2 shown]
	ds_write_b128 v74, v[27:30]
	ds_write_b128 v80, v[7:10]
	;; [unrolled: 1-line block ×5, first 2 shown]
	ds_write_b128 v51, v[23:26] offset:10080
	ds_write_b128 v51, v[39:42] offset:12096
	s_waitcnt lgkmcnt(0)
	s_barrier
	buffer_gl0_inv
	global_load_dwordx2 v[72:73], v52, s[14:15]
	v_lshlrev_b32_e32 v1, 1, v54
	v_lshlrev_b32_e32 v2, 1, v55
	;; [unrolled: 1-line block ×3, first 2 shown]
	v_and_or_b32 v3, 0xfc, v49, v50
	v_lshlrev_b32_e32 v9, 1, v57
	v_and_or_b32 v13, 0x1fc, v1, v50
	v_and_or_b32 v14, 0x3fc, v2, v50
	;; [unrolled: 1-line block ×3, first 2 shown]
	v_lshlrev_b32_e32 v83, 3, v3
	ds_read2_b64 v[1:4], v48 offset0:116 offset1:242
	ds_read2_b64 v[5:8], v43 offset0:112 offset1:238
	v_and_or_b32 v17, 0x7fc, v9, v50
	ds_read2_b64 v[9:12], v45 offset0:108 offset1:234
	v_lshlrev_b32_e32 v85, 3, v13
	v_lshlrev_b32_e32 v84, 3, v14
	v_lshlrev_b32_e32 v82, 3, v15
	ds_read2_b64 v[13:16], v47 offset0:104 offset1:230
	v_and_or_b32 v18, 0x5fc, v58, v50
	v_and_or_b32 v19, 0x7fc, v59, v50
	v_lshlrev_b32_e32 v81, 3, v17
	v_add_nc_u32_e32 v27, 0x1000, v138
	v_add_nc_u32_e32 v34, 0x1800, v138
	v_lshlrev_b32_e32 v79, 3, v18
	v_lshlrev_b32_e32 v77, 3, v19
	ds_read2_b64 v[17:20], v138 offset1:126
	ds_read2_b64 v[21:24], v44 offset0:124 offset1:250
	ds_read2_b64 v[30:33], v46 offset0:120 offset1:246
	s_waitcnt vmcnt(0) lgkmcnt(0)
	s_barrier
	buffer_gl0_inv
	v_mul_f32_e32 v25, v4, v73
	v_mul_f32_e32 v26, v3, v73
	;; [unrolled: 1-line block ×14, first 2 shown]
	v_fma_f32 v3, v3, v72, -v25
	v_fmac_f32_e32 v26, v4, v72
	v_fma_f32 v5, v5, v72, -v28
	v_fmac_f32_e32 v29, v6, v72
	;; [unrolled: 2-line block ×7, first 2 shown]
	v_sub_f32_e32 v3, v17, v3
	v_sub_f32_e32 v4, v18, v26
	;; [unrolled: 1-line block ×14, first 2 shown]
	v_fma_f32 v15, v17, 2.0, -v3
	v_fma_f32 v16, v18, 2.0, -v4
	;; [unrolled: 1-line block ×14, first 2 shown]
	ds_write2_b64 v83, v[15:16], v[3:4] offset1:2
	ds_write2_b64 v85, v[17:18], v[5:6] offset1:2
	;; [unrolled: 1-line block ×7, first 2 shown]
	s_waitcnt lgkmcnt(0)
	s_barrier
	buffer_gl0_inv
	ds_read2_b64 v[8:11], v138 offset1:126
	ds_read2_b64 v[24:27], v27 offset0:76 offset1:202
	ds_read2_b64 v[20:23], v45 offset0:24 offset1:150
	;; [unrolled: 1-line block ×5, first 2 shown]
                                        ; implicit-def: $vgpr30
	s_and_saveexec_b32 s0, vcc_lo
	s_cbranch_execz .LBB0_3
; %bb.2:
	ds_read_b64 v[48:49], v138 offset:4032
	ds_read_b64 v[28:29], v138 offset:8736
	;; [unrolled: 1-line block ×3, first 2 shown]
.LBB0_3:
	s_or_b32 exec_lo, exec_lo, s0
	v_and_b32_e32 v139, 3, v137
	v_and_b32_e32 v32, 3, v56
	;; [unrolled: 1-line block ×3, first 2 shown]
	v_lshrrev_b32_e32 v35, 2, v54
	v_lshrrev_b32_e32 v36, 2, v55
	v_lshlrev_b32_e32 v0, 4, v139
	v_lshlrev_b32_e32 v33, 4, v32
	v_lshrrev_b32_e32 v37, 2, v56
	v_mul_u32_u24_e32 v35, 12, v35
	v_mul_u32_u24_e32 v36, 12, v36
	s_clause 0x4
	global_load_dwordx4 v[0:3], v0, s[14:15] offset:16
	global_load_dwordx2 v[125:126], v33, s[14:15] offset:16
	global_load_dwordx2 v[127:128], v33, s[14:15] offset:24
	;; [unrolled: 1-line block ×3, first 2 shown]
	global_load_dword v144, v33, s[14:15] offset:28
	v_lshlrev_b32_e32 v33, 4, v34
	v_mul_u32_u24_e32 v37, 12, v37
	v_or_b32_e32 v34, v35, v34
	v_or_b32_e32 v35, v36, v139
	v_lshrrev_b32_e32 v140, 2, v57
	global_load_dword v146, v33, s[14:15] offset:16
	v_lshrrev_b32_e32 v33, 2, v137
	v_or_b32_e32 v32, v37, v32
	v_lshlrev_b32_e32 v143, 3, v34
	v_lshlrev_b32_e32 v142, 3, v35
	s_waitcnt vmcnt(0) lgkmcnt(0)
	v_mul_u32_u24_e32 v33, 12, v33
	v_lshlrev_b32_e32 v141, 3, v32
	s_barrier
	buffer_gl0_inv
	v_or_b32_e32 v33, v33, v139
	v_lshlrev_b32_e32 v145, 3, v33
	v_mul_f32_e32 v32, v25, v1
	v_mul_f32_e32 v33, v24, v1
	;; [unrolled: 1-line block ×20, first 2 shown]
	v_fma_f32 v24, v24, v0, -v32
	v_fmac_f32_e32 v33, v25, v0
	v_fma_f32 v20, v20, v2, -v34
	v_fmac_f32_e32 v35, v21, v2
	v_fmac_f32_e32 v39, v23, v130
	v_fmac_f32_e32 v41, v13, v0
	v_fma_f32 v13, v14, v125, -v44
	v_fma_f32 v14, v28, v0, -v50
	v_fmac_f32_e32 v51, v29, v0
	v_fma_f32 v23, v30, v2, -v52
	v_fmac_f32_e32 v53, v31, v2
	;; [unrolled: 2-line block ×3, first 2 shown]
	v_fma_f32 v22, v22, v130, -v38
	v_fma_f32 v12, v12, v0, -v40
	v_fma_f32 v16, v16, v2, -v42
	v_fmac_f32_e32 v43, v17, v2
	v_fmac_f32_e32 v45, v15, v125
	v_fma_f32 v18, v18, v127, -v46
	v_fmac_f32_e32 v47, v19, v127
	v_add_f32_e32 v17, v24, v20
	v_add_f32_e32 v26, v33, v35
	;; [unrolled: 1-line block ×6, first 2 shown]
	v_sub_f32_e32 v25, v33, v35
	v_add_f32_e32 v19, v9, v33
	v_sub_f32_e32 v29, v37, v39
	v_add_f32_e32 v30, v11, v37
	v_add_f32_e32 v33, v12, v16
	;; [unrolled: 1-line block ×4, first 2 shown]
	v_sub_f32_e32 v24, v24, v20
	v_add_f32_e32 v27, v10, v21
	v_sub_f32_e32 v32, v21, v22
	v_add_f32_e32 v21, v4, v12
	;; [unrolled: 2-line block ×3, first 2 shown]
	v_add_f32_e32 v41, v13, v18
	v_sub_f32_e32 v42, v45, v47
	v_add_f32_e32 v44, v7, v45
	v_add_f32_e32 v45, v45, v47
	;; [unrolled: 1-line block ×3, first 2 shown]
	v_sub_f32_e32 v60, v51, v53
	v_add_f32_e32 v61, v49, v51
	v_sub_f32_e32 v63, v14, v23
	v_fma_f32 v8, -0.5, v17, v8
	v_fma_f32 v9, -0.5, v26, v9
	v_fmac_f32_e32 v48, -0.5, v52
	v_fmac_f32_e32 v49, -0.5, v62
	v_fma_f32 v10, -0.5, v28, v10
	v_fmac_f32_e32 v11, -0.5, v31
	v_sub_f32_e32 v38, v12, v16
	v_fma_f32 v4, -0.5, v33, v4
	v_fma_f32 v5, -0.5, v37, v5
	v_add_f32_e32 v40, v6, v13
	v_sub_f32_e32 v46, v13, v18
	v_add_f32_e32 v12, v15, v20
	v_add_f32_e32 v13, v19, v35
	v_add_f32_e32 v16, v21, v16
	v_fma_f32 v6, -0.5, v41, v6
	v_fmac_f32_e32 v7, -0.5, v45
	v_add_f32_e32 v50, v50, v23
	v_add_f32_e32 v51, v61, v53
	v_fmamk_f32 v20, v25, 0x3f5db3d7, v8
	v_fmamk_f32 v21, v24, 0xbf5db3d7, v9
	;; [unrolled: 1-line block ×3, first 2 shown]
	v_fmac_f32_e32 v48, 0xbf5db3d7, v60
	v_fmamk_f32 v53, v63, 0xbf5db3d7, v49
	v_fmac_f32_e32 v49, 0x3f5db3d7, v63
	v_fmac_f32_e32 v8, 0xbf5db3d7, v25
	;; [unrolled: 1-line block ×3, first 2 shown]
	v_add_f32_e32 v14, v27, v22
	v_add_f32_e32 v15, v30, v39
	v_fmamk_f32 v22, v29, 0x3f5db3d7, v10
	v_fmamk_f32 v23, v32, 0xbf5db3d7, v11
	v_fmac_f32_e32 v10, 0xbf5db3d7, v29
	v_fmac_f32_e32 v11, 0x3f5db3d7, v32
	v_add_f32_e32 v17, v36, v43
	v_fmamk_f32 v24, v34, 0x3f5db3d7, v4
	v_fmamk_f32 v25, v38, 0xbf5db3d7, v5
	v_add_f32_e32 v18, v40, v18
	v_add_f32_e32 v19, v44, v47
	v_fmac_f32_e32 v4, 0xbf5db3d7, v34
	v_fmac_f32_e32 v5, 0x3f5db3d7, v38
	v_fmamk_f32 v26, v42, 0x3f5db3d7, v6
	v_fmac_f32_e32 v6, 0xbf5db3d7, v42
	v_fmamk_f32 v27, v46, 0xbf5db3d7, v7
	v_fmac_f32_e32 v7, 0x3f5db3d7, v46
	ds_write2_b64 v145, v[12:13], v[20:21] offset1:4
	ds_write_b64 v145, v[8:9] offset:64
	ds_write2_b64 v143, v[14:15], v[22:23] offset1:4
	ds_write_b64 v143, v[10:11] offset:64
	;; [unrolled: 2-line block ×4, first 2 shown]
	s_and_saveexec_b32 s0, vcc_lo
	s_cbranch_execz .LBB0_5
; %bb.4:
	v_mul_u32_u24_e32 v4, 12, v140
	v_or_b32_e32 v4, v4, v139
	v_lshlrev_b32_e32 v4, 3, v4
	ds_write2_b64 v4, v[50:51], v[52:53] offset1:4
	ds_write_b64 v4, v[48:49] offset:64
.LBB0_5:
	s_or_b32 exec_lo, exec_lo, s0
	v_add_nc_u32_e32 v4, 0x1000, v138
	v_add_nc_u32_e32 v5, 0x2400, v138
	;; [unrolled: 1-line block ×5, first 2 shown]
	s_waitcnt lgkmcnt(0)
	s_barrier
	buffer_gl0_inv
	ds_read2_b64 v[24:27], v138 offset1:126
	ds_read2_b64 v[44:47], v4 offset0:76 offset1:202
	ds_read2_b64 v[40:43], v5 offset0:24 offset1:150
	;; [unrolled: 1-line block ×5, first 2 shown]
	s_and_saveexec_b32 s0, vcc_lo
	s_cbranch_execz .LBB0_7
; %bb.6:
	ds_read_b64 v[50:51], v138 offset:4032
	ds_read_b64 v[52:53], v138 offset:8736
	;; [unrolled: 1-line block ×3, first 2 shown]
.LBB0_7:
	s_or_b32 exec_lo, exec_lo, s0
	v_and_b32_e32 v61, 0xff, v137
	v_and_b32_e32 v60, 0xff, v54
	v_mov_b32_e32 v5, 0xaaab
	v_mov_b32_e32 v70, 36
	v_lshlrev_b32_e32 v87, 3, v58
	v_mul_lo_u16 v4, 0xab, v61
	v_mul_lo_u16 v6, 0xab, v60
	v_mul_u32_u24_sdwa v7, v56, v5 dst_sel:DWORD dst_unused:UNUSED_PAD src0_sel:WORD_0 src1_sel:DWORD
	v_lshlrev_b32_e32 v86, 3, v59
	v_lshrrev_b16 v62, 11, v4
	v_mul_u32_u24_sdwa v4, v55, v5 dst_sel:DWORD dst_unused:UNUSED_PAD src0_sel:WORD_0 src1_sel:DWORD
	v_lshrrev_b16 v63, 11, v6
	v_mul_u32_u24_sdwa v5, v57, v5 dst_sel:DWORD dst_unused:UNUSED_PAD src0_sel:WORD_0 src1_sel:DWORD
	v_lshrrev_b32_e32 v65, 19, v7
	v_mul_lo_u16 v6, v62, 12
	v_lshrrev_b32_e32 v64, 19, v4
	v_mul_lo_u16 v4, v63, 12
	;; [unrolled: 2-line block ×3, first 2 shown]
	v_sub_nc_u16 v6, v137, v6
	v_mul_lo_u16 v5, v64, 12
	v_sub_nc_u16 v4, v54, v4
	v_mul_u32_u24_sdwa v58, v62, v70 dst_sel:DWORD dst_unused:UNUSED_PAD src0_sel:WORD_0 src1_sel:DWORD
	v_sub_nc_u16 v56, v56, v7
	v_and_b32_e32 v67, 0xff, v6
	v_mul_lo_u16 v6, v66, 12
	v_sub_nc_u16 v68, v55, v5
	v_and_b32_e32 v69, 0xff, v4
	v_mov_b32_e32 v55, 3
	v_lshlrev_b32_e32 v4, 4, v67
	v_sub_nc_u16 v57, v57, v6
	v_lshlrev_b16 v5, 4, v68
	v_lshlrev_b32_e32 v7, 4, v69
	v_lshlrev_b16 v6, 4, v56
	global_load_dwordx4 v[20:23], v4, s[14:15] offset:80
	v_mul_u32_u24_sdwa v59, v63, v70 dst_sel:DWORD dst_unused:UNUSED_PAD src0_sel:WORD_0 src1_sel:DWORD
	v_and_b32_e32 v5, 0xffff, v5
	global_load_dwordx4 v[16:19], v7, s[14:15] offset:80
	v_lshlrev_b16 v4, 4, v57
	v_and_b32_e32 v6, 0xffff, v6
	v_mad_u16 v62, v64, 36, v68
	v_mad_u16 v56, v65, 36, v56
	;; [unrolled: 1-line block ×3, first 2 shown]
	v_and_b32_e32 v8, 0xffff, v4
	v_add_co_u32 v4, s0, s14, v5
	v_add_co_ci_u32_e64 v5, null, s15, 0, s0
	v_add_co_u32 v6, s0, s14, v6
	v_add_co_ci_u32_e64 v7, null, s15, 0, s0
	global_load_dwordx4 v[12:15], v[4:5], off offset:80
	v_add_co_u32 v4, s0, s14, v8
	v_add_co_ci_u32_e64 v5, null, s15, 0, s0
	s_clause 0x1
	global_load_dwordx4 v[8:11], v[6:7], off offset:80
	global_load_dwordx4 v[4:7], v[4:5], off offset:80
	v_add_lshl_u32 v151, v58, v67, 3
	v_add_lshl_u32 v150, v59, v69, 3
	v_lshlrev_b32_sdwa v149, v55, v62 dst_sel:DWORD dst_unused:UNUSED_PAD src0_sel:DWORD src1_sel:WORD_0
	v_lshlrev_b32_sdwa v148, v55, v56 dst_sel:DWORD dst_unused:UNUSED_PAD src0_sel:DWORD src1_sel:WORD_0
	s_waitcnt vmcnt(0) lgkmcnt(0)
	s_barrier
	buffer_gl0_inv
	v_mul_f32_e32 v56, v45, v21
	v_mul_f32_e32 v57, v44, v21
	v_mul_f32_e32 v58, v41, v23
	v_mul_f32_e32 v59, v40, v23
	v_mul_f32_e32 v62, v47, v17
	v_mul_f32_e32 v63, v46, v17
	v_mul_f32_e32 v64, v43, v19
	v_mul_f32_e32 v65, v42, v19
	v_fma_f32 v44, v44, v20, -v56
	v_fmac_f32_e32 v57, v45, v20
	v_fma_f32 v45, v40, v22, -v58
	v_fmac_f32_e32 v59, v41, v22
	;; [unrolled: 2-line block ×4, first 2 shown]
	v_mul_f32_e32 v43, v37, v13
	v_mul_f32_e32 v47, v36, v13
	;; [unrolled: 1-line block ×4, first 2 shown]
	v_fma_f32 v43, v36, v12, -v43
	v_mul_f32_e32 v62, v39, v9
	v_mul_f32_e32 v64, v38, v9
	;; [unrolled: 1-line block ×8, first 2 shown]
	v_fmac_f32_e32 v47, v37, v12
	v_fma_f32 v56, v32, v14, -v56
	v_fmac_f32_e32 v58, v33, v14
	v_fma_f32 v62, v38, v8, -v62
	v_fmac_f32_e32 v64, v39, v8
	v_fmac_f32_e32 v67, v35, v10
	v_fma_f32 v33, v52, v4, -v68
	v_fmac_f32_e32 v41, v53, v4
	v_fma_f32 v32, v48, v6, -v69
	v_fmac_f32_e32 v40, v49, v6
	v_add_f32_e32 v35, v44, v45
	v_sub_f32_e32 v48, v57, v59
	v_add_f32_e32 v37, v25, v57
	v_add_f32_e32 v38, v57, v59
	;; [unrolled: 1-line block ×6, first 2 shown]
	v_fma_f32 v66, v34, v10, -v66
	v_add_f32_e32 v34, v24, v44
	v_sub_f32_e32 v52, v63, v65
	v_sub_f32_e32 v46, v46, v42
	v_fma_f32 v36, -0.5, v35, v24
	v_add_f32_e32 v35, v37, v59
	v_fma_f32 v37, -0.5, v38, v25
	v_add_f32_e32 v38, v39, v42
	v_fma_f32 v26, -0.5, v49, v26
	v_add_f32_e32 v39, v53, v65
	v_fmac_f32_e32 v27, -0.5, v57
	v_add_f32_e32 v49, v28, v43
	v_add_f32_e32 v53, v43, v56
	;; [unrolled: 1-line block ×5, first 2 shown]
	v_sub_f32_e32 v44, v44, v45
	v_add_f32_e32 v34, v34, v45
	v_add_f32_e32 v59, v29, v47
	;; [unrolled: 1-line block ×3, first 2 shown]
	v_sub_f32_e32 v70, v64, v67
	v_add_f32_e32 v71, v31, v64
	v_add_f32_e32 v64, v64, v67
	v_sub_f32_e32 v24, v41, v40
	v_sub_f32_e32 v25, v33, v32
	v_fmamk_f32 v42, v48, 0x3f5db3d7, v36
	v_fmac_f32_e32 v36, 0xbf5db3d7, v48
	v_fmamk_f32 v45, v46, 0xbf5db3d7, v27
	v_fmac_f32_e32 v27, 0x3f5db3d7, v46
	v_add_f32_e32 v46, v49, v56
	v_fma_f32 v48, -0.5, v53, v28
	v_fma_f32 v49, -0.5, v63, v29
	;; [unrolled: 1-line block ×4, first 2 shown]
	v_sub_f32_e32 v57, v47, v58
	v_sub_f32_e32 v65, v43, v56
	v_add_f32_e32 v68, v30, v62
	v_sub_f32_e32 v62, v62, v66
	v_fmamk_f32 v43, v44, 0xbf5db3d7, v37
	v_fma_f32 v30, -0.5, v69, v30
	v_fmac_f32_e32 v31, -0.5, v64
	v_fmamk_f32 v131, v24, 0xbf5db3d7, v28
	v_fmamk_f32 v132, v25, 0x3f5db3d7, v29
	v_fmac_f32_e32 v37, 0x3f5db3d7, v44
	v_fmamk_f32 v44, v52, 0x3f5db3d7, v26
	v_fmac_f32_e32 v26, 0xbf5db3d7, v52
	v_add_f32_e32 v47, v59, v58
	v_fmamk_f32 v56, v57, 0x3f5db3d7, v48
	v_fmac_f32_e32 v48, 0xbf5db3d7, v57
	v_fmamk_f32 v57, v65, 0xbf5db3d7, v49
	v_add_f32_e32 v52, v68, v66
	v_add_f32_e32 v53, v71, v67
	v_fmac_f32_e32 v49, 0x3f5db3d7, v65
	v_fmamk_f32 v58, v70, 0x3f5db3d7, v30
	v_fmac_f32_e32 v30, 0xbf5db3d7, v70
	v_fmamk_f32 v59, v62, 0xbf5db3d7, v31
	v_fmac_f32_e32 v31, 0x3f5db3d7, v62
	ds_write2_b64 v151, v[34:35], v[42:43] offset1:12
	ds_write_b64 v151, v[36:37] offset:192
	ds_write2_b64 v150, v[38:39], v[44:45] offset1:12
	ds_write_b64 v150, v[26:27] offset:192
	;; [unrolled: 2-line block ×4, first 2 shown]
	s_and_saveexec_b32 s0, vcc_lo
	s_cbranch_execz .LBB0_9
; %bb.8:
	v_add_f32_e32 v26, v51, v41
	v_add_f32_e32 v27, v50, v33
	v_mul_f32_e32 v30, 0x3f5db3d7, v25
	v_mul_f32_e32 v31, 0x3f5db3d7, v24
	v_add_f32_e32 v25, v26, v40
	v_add_f32_e32 v24, v27, v32
	v_sub_f32_e32 v27, v29, v30
	v_lshlrev_b32_sdwa v29, v55, v147 dst_sel:DWORD dst_unused:UNUSED_PAD src0_sel:DWORD src1_sel:WORD_0
	v_add_f32_e32 v26, v31, v28
	ds_write2_b64 v29, v[24:25], v[26:27] offset1:12
	ds_write_b64 v29, v[131:132] offset:192
.LBB0_9:
	s_or_b32 exec_lo, exec_lo, s0
	v_mul_lo_u16 v24, v61, 57
	v_mul_lo_u16 v25, v60, 57
	s_waitcnt lgkmcnt(0)
	s_barrier
	buffer_gl0_inv
	v_lshrrev_b16 v92, 11, v24
	v_lshrrev_b16 v93, 11, v25
	v_add_nc_u32_e32 v154, 0x400, v138
	v_add_nc_u32_e32 v89, 0xc00, v138
	;; [unrolled: 1-line block ×3, first 2 shown]
	v_mul_lo_u16 v24, v92, 36
	v_mul_lo_u16 v26, v93, 36
	v_add_nc_u32_e32 v90, 0x1c00, v138
	v_add_nc_u32_e32 v88, 0x2400, v138
	;; [unrolled: 1-line block ×3, first 2 shown]
	v_sub_nc_u16 v24, v137, v24
	v_sub_nc_u16 v26, v54, v26
	v_bfrev_b32_e32 v94, 0.5
	v_mad_u64_u32 v[133:134], null, v137, 48, s[14:15]
	v_and_b32_e32 v135, 0xff, v24
	v_and_b32_e32 v136, 0xff, v26
	v_mul_u32_u24_sdwa v152, v92, v94 dst_sel:DWORD dst_unused:UNUSED_PAD src0_sel:WORD_0 src1_sel:DWORD
	v_mul_u32_u24_sdwa v156, v93, v94 dst_sel:DWORD dst_unused:UNUSED_PAD src0_sel:WORD_0 src1_sel:DWORD
	v_add_nc_u32_e32 v204, 0x2000, v138
	v_mad_u64_u32 v[24:25], null, v135, 48, s[14:15]
	v_mad_u64_u32 v[26:27], null, v136, 48, s[14:15]
	v_add_lshl_u32 v153, v152, v135, 3
	v_add_lshl_u32 v152, v156, v136, 3
	v_add_nc_u32_e32 v205, 0x800, v138
	v_add_nc_u32_e32 v206, 0x2800, v138
	s_clause 0x5
	global_load_dwordx4 v[44:47], v[24:25], off offset:272
	global_load_dwordx4 v[40:43], v[24:25], off offset:288
	;; [unrolled: 1-line block ×6, first 2 shown]
	ds_read2_b64 v[48:51], v154 offset0:124 offset1:250
	ds_read2_b64 v[52:55], v89 offset0:120 offset1:246
	;; [unrolled: 1-line block ×6, first 2 shown]
	ds_read2_b64 v[92:95], v138 offset1:126
	s_waitcnt vmcnt(0) lgkmcnt(0)
	s_barrier
	buffer_gl0_inv
	v_add_nc_u32_e32 v207, 0x1000, v138
	v_mul_f32_e32 v158, v57, v41
	v_mul_f32_e32 v159, v56, v41
	;; [unrolled: 1-line block ×24, first 2 shown]
	v_fma_f32 v48, v48, v44, -v135
	v_fmac_f32_e32 v136, v49, v44
	v_fma_f32 v49, v52, v46, -v156
	v_fmac_f32_e32 v157, v53, v46
	;; [unrolled: 2-line block ×12, first 2 shown]
	v_add_f32_e32 v60, v48, v57
	v_add_f32_e32 v61, v136, v165
	;; [unrolled: 1-line block ×4, first 2 shown]
	v_sub_f32_e32 v48, v48, v57
	v_sub_f32_e32 v57, v136, v165
	;; [unrolled: 1-line block ×4, first 2 shown]
	v_add_f32_e32 v64, v52, v53
	v_add_f32_e32 v65, v159, v161
	v_sub_f32_e32 v52, v53, v52
	v_sub_f32_e32 v53, v161, v159
	v_add_f32_e32 v66, v50, v59
	v_add_f32_e32 v67, v167, v177
	v_add_f32_e32 v68, v51, v58
	v_add_f32_e32 v69, v169, v175
	v_sub_f32_e32 v50, v50, v59
	v_sub_f32_e32 v59, v167, v177
	;; [unrolled: 1-line block ×4, first 2 shown]
	v_add_f32_e32 v70, v54, v55
	v_add_f32_e32 v71, v171, v173
	v_sub_f32_e32 v54, v55, v54
	v_sub_f32_e32 v55, v173, v171
	v_add_f32_e32 v135, v62, v60
	v_add_f32_e32 v136, v63, v61
	v_sub_f32_e32 v156, v62, v60
	v_sub_f32_e32 v157, v63, v61
	;; [unrolled: 1-line block ×6, first 2 shown]
	v_add_f32_e32 v158, v52, v49
	v_add_f32_e32 v159, v53, v56
	v_sub_f32_e32 v160, v52, v49
	v_sub_f32_e32 v161, v53, v56
	;; [unrolled: 1-line block ×4, first 2 shown]
	v_add_f32_e32 v49, v68, v66
	v_add_f32_e32 v163, v69, v67
	v_sub_f32_e32 v164, v68, v66
	v_sub_f32_e32 v165, v69, v67
	;; [unrolled: 1-line block ×6, first 2 shown]
	v_add_f32_e32 v166, v54, v51
	v_add_f32_e32 v167, v55, v58
	v_sub_f32_e32 v168, v54, v51
	v_sub_f32_e32 v169, v55, v58
	;; [unrolled: 1-line block ×4, first 2 shown]
	v_add_f32_e32 v64, v64, v135
	v_add_f32_e32 v65, v65, v136
	v_sub_f32_e32 v52, v48, v52
	v_sub_f32_e32 v53, v57, v53
	v_add_f32_e32 v135, v158, v48
	v_add_f32_e32 v57, v159, v57
	v_mul_f32_e32 v51, 0x3f4a47b2, v60
	v_mul_f32_e32 v60, 0x3f4a47b2, v61
	;; [unrolled: 1-line block ×8, first 2 shown]
	v_add_f32_e32 v70, v70, v49
	v_add_f32_e32 v71, v71, v163
	v_sub_f32_e32 v54, v50, v54
	v_sub_f32_e32 v55, v59, v55
	v_add_f32_e32 v163, v166, v50
	v_add_f32_e32 v59, v167, v59
	v_mul_f32_e32 v66, 0x3f4a47b2, v66
	v_mul_f32_e32 v67, 0x3f4a47b2, v67
	;; [unrolled: 1-line block ×8, first 2 shown]
	v_add_f32_e32 v48, v92, v64
	v_add_f32_e32 v49, v93, v65
	v_fmamk_f32 v62, v62, 0x3d64c772, v51
	v_fmamk_f32 v63, v63, 0x3d64c772, v60
	v_fma_f32 v61, 0x3f3bfb3b, v156, -v61
	v_fma_f32 v92, 0x3f3bfb3b, v157, -v136
	;; [unrolled: 1-line block ×4, first 2 shown]
	v_fmamk_f32 v136, v52, 0x3eae86e6, v158
	v_fmamk_f32 v156, v53, 0x3eae86e6, v159
	v_fma_f32 v157, 0x3f5ff5aa, v162, -v158
	v_fma_f32 v158, 0x3f5ff5aa, v56, -v159
	;; [unrolled: 1-line block ×4, first 2 shown]
	v_add_f32_e32 v50, v94, v70
	v_add_f32_e32 v51, v95, v71
	v_fmamk_f32 v52, v68, 0x3d64c772, v66
	v_fmamk_f32 v53, v69, 0x3d64c772, v67
	v_fma_f32 v56, 0x3f3bfb3b, v164, -v166
	v_fma_f32 v68, 0x3f3bfb3b, v165, -v167
	;; [unrolled: 1-line block ×4, first 2 shown]
	v_fmamk_f32 v95, v54, 0x3eae86e6, v168
	v_fmamk_f32 v94, v55, 0x3eae86e6, v169
	v_fma_f32 v164, 0xbeae86e6, v54, -v171
	v_fma_f32 v165, 0xbeae86e6, v55, -v172
	v_fmamk_f32 v54, v64, 0xbf955555, v48
	v_fmamk_f32 v55, v65, 0xbf955555, v49
	v_fma_f32 v162, 0x3f5ff5aa, v58, -v169
	v_fma_f32 v161, 0x3f5ff5aa, v170, -v168
	v_fmac_f32_e32 v156, 0x3ee1c552, v57
	v_fmac_f32_e32 v158, 0x3ee1c552, v57
	;; [unrolled: 1-line block ×3, first 2 shown]
	v_fmamk_f32 v57, v70, 0xbf955555, v50
	v_fmamk_f32 v58, v71, 0xbf955555, v51
	v_fmac_f32_e32 v136, 0x3ee1c552, v135
	v_add_f32_e32 v62, v62, v54
	v_add_f32_e32 v63, v63, v55
	v_fmac_f32_e32 v157, 0x3ee1c552, v135
	v_fmac_f32_e32 v159, 0x3ee1c552, v135
	;; [unrolled: 1-line block ×5, first 2 shown]
	v_add_f32_e32 v59, v61, v54
	v_add_f32_e32 v61, v92, v55
	;; [unrolled: 1-line block ×4, first 2 shown]
	v_fmac_f32_e32 v95, 0x3ee1c552, v163
	v_fmac_f32_e32 v161, 0x3ee1c552, v163
	;; [unrolled: 1-line block ×3, first 2 shown]
	v_add_f32_e32 v135, v52, v57
	v_add_f32_e32 v163, v53, v58
	;; [unrolled: 1-line block ×7, first 2 shown]
	v_sub_f32_e32 v53, v63, v136
	v_add_f32_e32 v54, v160, v64
	v_sub_f32_e32 v55, v65, v159
	v_sub_f32_e32 v56, v59, v158
	v_add_f32_e32 v57, v157, v61
	v_add_f32_e32 v58, v158, v59
	v_sub_f32_e32 v59, v61, v157
	v_sub_f32_e32 v60, v64, v160
	v_add_f32_e32 v61, v159, v65
	v_sub_f32_e32 v62, v62, v156
	v_add_f32_e32 v63, v136, v63
	v_add_f32_e32 v64, v94, v135
	v_sub_f32_e32 v65, v163, v95
	v_add_f32_e32 v66, v165, v92
	v_sub_f32_e32 v67, v93, v164
	v_sub_f32_e32 v68, v70, v162
	v_add_f32_e32 v69, v161, v71
	v_add_f32_e32 v70, v162, v70
	v_sub_f32_e32 v71, v71, v161
	v_sub_f32_e32 v92, v92, v165
	v_add_f32_e32 v93, v164, v93
	v_sub_f32_e32 v94, v135, v94
	v_add_f32_e32 v95, v95, v163
	ds_write2_b64 v153, v[48:49], v[52:53] offset1:36
	ds_write2_b64 v153, v[54:55], v[56:57] offset0:72 offset1:108
	ds_write2_b64 v153, v[58:59], v[60:61] offset0:144 offset1:180
	ds_write_b64 v153, v[62:63] offset:1728
	ds_write2_b64 v152, v[50:51], v[64:65] offset1:36
	ds_write2_b64 v152, v[66:67], v[68:69] offset0:72 offset1:108
	ds_write2_b64 v152, v[70:71], v[92:93] offset0:144 offset1:180
	ds_write_b64 v152, v[94:95] offset:1728
	v_add_co_u32 v48, s0, 0x1800, v133
	v_add_co_ci_u32_e64 v49, s0, 0, v134, s0
	v_add_co_u32 v50, s0, 0x1f70, v133
	s_waitcnt lgkmcnt(0)
	s_barrier
	buffer_gl0_inv
	s_clause 0x2
	global_load_dwordx4 v[60:63], v[133:134], off offset:2000
	global_load_dwordx4 v[68:71], v[133:134], off offset:2016
	;; [unrolled: 1-line block ×3, first 2 shown]
	v_add_co_ci_u32_e64 v51, s0, 0, v134, s0
	s_clause 0x2
	global_load_dwordx4 v[56:59], v[48:49], off offset:1904
	global_load_dwordx4 v[52:55], v[50:51], off offset:16
	;; [unrolled: 1-line block ×3, first 2 shown]
	ds_read2_b64 v[133:136], v154 offset0:124 offset1:250
	ds_read2_b64 v[156:159], v89 offset0:120 offset1:246
	;; [unrolled: 1-line block ×6, first 2 shown]
	ds_read2_b64 v[176:179], v138 offset1:126
	v_lshlrev_b32_e32 v92, 3, v137
	v_add_co_u32 v92, s0, s12, v92
	v_add_co_ci_u32_e64 v93, null, s13, 0, s0
	v_add_co_u32 v94, s0, 0x3000, v92
	v_add_co_ci_u32_e64 v95, s0, 0, v93, s0
	s_waitcnt vmcnt(5) lgkmcnt(6)
	v_mul_f32_e32 v180, v134, v61
	v_mul_f32_e32 v181, v133, v61
	s_waitcnt lgkmcnt(5)
	v_mul_f32_e32 v182, v157, v63
	v_mul_f32_e32 v183, v156, v63
	s_waitcnt vmcnt(4) lgkmcnt(4)
	v_mul_f32_e32 v184, v161, v69
	v_mul_f32_e32 v185, v160, v69
	s_waitcnt vmcnt(3) lgkmcnt(2)
	v_mul_f32_e32 v188, v169, v65
	v_mul_f32_e32 v189, v168, v65
	s_waitcnt lgkmcnt(1)
	v_mul_f32_e32 v190, v173, v67
	v_mul_f32_e32 v191, v172, v67
	v_mul_f32_e32 v186, v165, v71
	v_mul_f32_e32 v187, v164, v71
	s_waitcnt vmcnt(2)
	v_mul_f32_e32 v192, v136, v57
	v_mul_f32_e32 v193, v135, v57
	v_mul_f32_e32 v194, v159, v59
	v_mul_f32_e32 v195, v158, v59
	s_waitcnt vmcnt(1)
	;; [unrolled: 5-line block ×3, first 2 shown]
	v_mul_f32_e32 v200, v171, v49
	v_mul_f32_e32 v201, v170, v49
	;; [unrolled: 1-line block ×4, first 2 shown]
	v_fma_f32 v133, v133, v60, -v180
	v_fmac_f32_e32 v181, v134, v60
	v_fma_f32 v134, v156, v62, -v182
	v_fmac_f32_e32 v183, v157, v62
	;; [unrolled: 2-line block ×12, first 2 shown]
	v_add_f32_e32 v164, v133, v161
	v_add_f32_e32 v165, v181, v191
	;; [unrolled: 1-line block ×4, first 2 shown]
	v_sub_f32_e32 v133, v133, v161
	v_sub_f32_e32 v161, v181, v191
	;; [unrolled: 1-line block ×4, first 2 shown]
	v_add_f32_e32 v168, v156, v157
	v_add_f32_e32 v169, v185, v187
	v_sub_f32_e32 v156, v157, v156
	v_sub_f32_e32 v157, v187, v185
	v_add_f32_e32 v170, v135, v163
	v_add_f32_e32 v171, v193, v203
	v_sub_f32_e32 v135, v135, v163
	v_sub_f32_e32 v163, v193, v203
	;; [unrolled: 4-line block ×5, first 2 shown]
	v_sub_f32_e32 v164, v164, v168
	v_sub_f32_e32 v165, v165, v169
	;; [unrolled: 1-line block ×4, first 2 shown]
	v_add_f32_e32 v184, v156, v134
	v_add_f32_e32 v185, v157, v160
	v_sub_f32_e32 v186, v156, v134
	v_sub_f32_e32 v187, v157, v160
	;; [unrolled: 1-line block ×4, first 2 shown]
	v_add_f32_e32 v134, v172, v170
	v_add_f32_e32 v189, v173, v171
	v_sub_f32_e32 v190, v172, v170
	v_sub_f32_e32 v191, v173, v171
	;; [unrolled: 1-line block ×6, first 2 shown]
	v_add_f32_e32 v192, v158, v136
	v_add_f32_e32 v193, v159, v162
	v_sub_f32_e32 v194, v158, v136
	v_sub_f32_e32 v195, v159, v162
	;; [unrolled: 1-line block ×4, first 2 shown]
	v_add_f32_e32 v168, v168, v180
	v_add_f32_e32 v169, v169, v181
	v_sub_f32_e32 v156, v133, v156
	v_sub_f32_e32 v157, v161, v157
	;; [unrolled: 1-line block ×4, first 2 shown]
	v_add_f32_e32 v180, v184, v133
	v_add_f32_e32 v161, v185, v161
	v_mul_f32_e32 v136, 0x3f4a47b2, v164
	v_mul_f32_e32 v164, 0x3f4a47b2, v165
	;; [unrolled: 1-line block ×8, first 2 shown]
	v_add_f32_e32 v174, v174, v134
	v_add_f32_e32 v175, v175, v189
	;; [unrolled: 1-line block ×4, first 2 shown]
	v_mul_f32_e32 v170, 0x3f4a47b2, v170
	v_mul_f32_e32 v171, 0x3f4a47b2, v171
	;; [unrolled: 1-line block ×8, first 2 shown]
	s_waitcnt lgkmcnt(0)
	v_add_f32_e32 v133, v176, v168
	v_add_f32_e32 v134, v177, v169
	v_fmamk_f32 v166, v166, 0x3d64c772, v136
	v_fmamk_f32 v167, v167, 0x3d64c772, v164
	v_fma_f32 v165, 0x3f3bfb3b, v182, -v165
	v_fma_f32 v176, 0x3f3bfb3b, v183, -v181
	;; [unrolled: 1-line block ×4, first 2 shown]
	v_fmamk_f32 v181, v156, 0x3eae86e6, v184
	v_fmamk_f32 v182, v157, 0x3eae86e6, v185
	v_fma_f32 v183, 0x3f5ff5aa, v188, -v184
	v_fma_f32 v184, 0x3f5ff5aa, v160, -v185
	;; [unrolled: 1-line block ×4, first 2 shown]
	v_add_f32_e32 v135, v178, v174
	v_add_f32_e32 v136, v179, v175
	v_fmamk_f32 v156, v172, 0x3d64c772, v170
	v_fmamk_f32 v157, v173, 0x3d64c772, v171
	v_fma_f32 v160, 0x3f3bfb3b, v190, -v192
	v_fma_f32 v172, 0x3f3bfb3b, v191, -v193
	;; [unrolled: 1-line block ×4, first 2 shown]
	v_fmamk_f32 v179, v158, 0x3eae86e6, v194
	v_fmamk_f32 v178, v159, 0x3eae86e6, v195
	v_fma_f32 v190, 0xbeae86e6, v158, -v197
	v_fma_f32 v191, 0xbeae86e6, v159, -v198
	v_fmamk_f32 v158, v168, 0xbf955555, v133
	v_fmamk_f32 v159, v169, 0xbf955555, v134
	v_fma_f32 v188, 0x3f5ff5aa, v162, -v195
	v_fma_f32 v187, 0x3f5ff5aa, v196, -v194
	v_fmac_f32_e32 v181, 0x3ee1c552, v180
	v_fmac_f32_e32 v182, 0x3ee1c552, v161
	;; [unrolled: 1-line block ×4, first 2 shown]
	v_fmamk_f32 v161, v174, 0xbf955555, v135
	v_fmamk_f32 v162, v175, 0xbf955555, v136
	v_add_f32_e32 v166, v166, v158
	v_add_f32_e32 v167, v167, v159
	v_fmac_f32_e32 v185, 0x3ee1c552, v180
	v_add_f32_e32 v168, v177, v158
	v_add_f32_e32 v169, v164, v159
	v_fmac_f32_e32 v183, 0x3ee1c552, v180
	v_fmac_f32_e32 v178, 0x3ee1c552, v163
	;; [unrolled: 1-line block ×4, first 2 shown]
	v_add_f32_e32 v163, v165, v158
	v_add_f32_e32 v165, v176, v159
	v_fmac_f32_e32 v179, 0x3ee1c552, v189
	v_fmac_f32_e32 v187, 0x3ee1c552, v189
	;; [unrolled: 1-line block ×3, first 2 shown]
	v_add_f32_e32 v180, v156, v161
	v_add_f32_e32 v189, v157, v162
	;; [unrolled: 1-line block ×7, first 2 shown]
	v_sub_f32_e32 v157, v167, v181
	v_add_f32_e32 v158, v186, v168
	v_sub_f32_e32 v159, v169, v185
	v_sub_f32_e32 v160, v163, v184
	v_add_f32_e32 v161, v183, v165
	v_add_f32_e32 v162, v184, v163
	v_sub_f32_e32 v163, v165, v183
	v_sub_f32_e32 v164, v168, v186
	v_add_f32_e32 v165, v185, v169
	v_sub_f32_e32 v166, v166, v182
	v_add_f32_e32 v167, v181, v167
	v_add_f32_e32 v168, v178, v180
	v_sub_f32_e32 v169, v189, v179
	v_add_f32_e32 v170, v191, v176
	v_sub_f32_e32 v171, v177, v190
	v_sub_f32_e32 v172, v174, v188
	v_add_f32_e32 v173, v187, v175
	v_add_f32_e32 v174, v188, v174
	v_sub_f32_e32 v175, v175, v187
	v_sub_f32_e32 v176, v176, v191
	v_add_f32_e32 v177, v190, v177
	v_sub_f32_e32 v178, v180, v178
	v_add_f32_e32 v179, v179, v189
	ds_write_b64 v138, v[156:157] offset:2016
	ds_write_b64 v138, v[158:159] offset:4032
	;; [unrolled: 1-line block ×6, first 2 shown]
	ds_write2_b64 v138, v[133:134], v[135:136] offset1:126
	ds_write_b64 v138, v[168:169] offset:3024
	ds_write_b64 v138, v[170:171] offset:5040
	;; [unrolled: 1-line block ×6, first 2 shown]
	s_waitcnt lgkmcnt(0)
	s_barrier
	buffer_gl0_inv
	global_load_dwordx2 v[133:134], v[94:95], off offset:1824
	v_add_co_u32 v94, s0, 0x3720, v92
	v_add_co_ci_u32_e64 v95, s0, 0, v93, s0
	v_add_co_u32 v135, s0, 0x5000, v92
	v_add_co_ci_u32_e64 v136, s0, 0, v93, s0
	;; [unrolled: 2-line block ×4, first 2 shown]
	v_add_co_u32 v160, s0, 0x6000, v92
	global_load_dwordx2 v[176:177], v[94:95], off offset:1008
	v_add_co_ci_u32_e64 v161, s0, 0, v93, s0
	s_clause 0x3
	global_load_dwordx2 v[178:179], v[135:136], off offset:688
	global_load_dwordx2 v[180:181], v[94:95], off offset:2016
	;; [unrolled: 1-line block ×4, first 2 shown]
	v_add_co_u32 v94, s0, 0x4800, v92
	v_add_co_ci_u32_e64 v95, s0, 0, v93, s0
	v_add_co_u32 v92, s0, 0x6800, v92
	v_add_co_ci_u32_e64 v93, s0, 0, v93, s0
	s_clause 0x7
	global_load_dwordx2 v[186:187], v[158:159], off offset:752
	global_load_dwordx2 v[188:189], v[156:157], off offset:1664
	;; [unrolled: 1-line block ×8, first 2 shown]
	ds_read2_b64 v[92:95], v138 offset1:126
	v_add_nc_u32_e32 v203, 0x1800, v138
	s_waitcnt vmcnt(13) lgkmcnt(0)
	v_mul_f32_e32 v136, v93, v134
	v_mul_f32_e32 v135, v92, v134
	v_fma_f32 v134, v92, v133, -v136
	v_fmac_f32_e32 v135, v93, v133
	ds_write_b64 v138, v[134:135]
	ds_read2_b64 v[133:136], v91 offset0:116 offset1:242
	ds_read2_b64 v[156:159], v90 offset0:112 offset1:238
	;; [unrolled: 1-line block ×6, first 2 shown]
	s_waitcnt vmcnt(12)
	v_mul_f32_e32 v92, v95, v177
	v_mul_f32_e32 v93, v94, v177
	v_fma_f32 v92, v94, v176, -v92
	v_fmac_f32_e32 v93, v95, v176
	s_waitcnt vmcnt(11) lgkmcnt(5)
	v_mul_f32_e32 v94, v136, v179
	v_mul_f32_e32 v95, v135, v179
	s_waitcnt vmcnt(9) lgkmcnt(4)
	v_mul_f32_e32 v176, v157, v183
	v_mul_f32_e32 v177, v156, v183
	s_waitcnt lgkmcnt(3)
	v_mul_f32_e32 v208, v161, v181
	v_mul_f32_e32 v183, v160, v181
	s_waitcnt vmcnt(8)
	v_mul_f32_e32 v209, v159, v185
	v_mul_f32_e32 v202, v158, v185
	s_waitcnt vmcnt(6) lgkmcnt(2)
	v_mul_f32_e32 v211, v165, v189
	v_mul_f32_e32 v179, v164, v189
	;; [unrolled: 1-line block ×4, first 2 shown]
	s_waitcnt vmcnt(5) lgkmcnt(1)
	v_mul_f32_e32 v212, v169, v191
	v_mul_f32_e32 v185, v168, v191
	s_waitcnt vmcnt(4)
	v_mul_f32_e32 v213, v167, v193
	v_mul_f32_e32 v187, v166, v193
	s_waitcnt vmcnt(2) lgkmcnt(0)
	v_mul_f32_e32 v215, v173, v197
	v_mul_f32_e32 v191, v172, v197
	;; [unrolled: 1-line block ×4, first 2 shown]
	s_waitcnt vmcnt(1)
	v_mul_f32_e32 v197, v134, v199
	v_mul_f32_e32 v193, v133, v199
	s_waitcnt vmcnt(0)
	v_mul_f32_e32 v199, v175, v201
	v_mul_f32_e32 v195, v174, v201
	v_fma_f32 v176, v156, v182, -v176
	v_fmac_f32_e32 v177, v157, v182
	v_fma_f32 v94, v135, v178, -v94
	v_fmac_f32_e32 v95, v136, v178
	;; [unrolled: 2-line block ×12, first 2 shown]
	ds_write2_b64 v203, v[94:95], v[176:177] offset0:114 offset1:240
	ds_write2_b64 v138, v[92:93], v[182:183] offset0:126 offset1:252
	;; [unrolled: 1-line block ×6, first 2 shown]
	ds_write_b64 v138, v[194:195] offset:13104
	s_waitcnt lgkmcnt(0)
	s_barrier
	buffer_gl0_inv
	ds_read2_b64 v[92:95], v138 offset1:126
	ds_read2_b64 v[133:136], v91 offset0:116 offset1:242
	ds_read2_b64 v[156:159], v90 offset0:112 offset1:238
	;; [unrolled: 1-line block ×6, first 2 shown]
	s_waitcnt lgkmcnt(0)
	s_barrier
	buffer_gl0_inv
	v_sub_f32_e32 v176, v92, v135
	v_sub_f32_e32 v177, v93, v136
	;; [unrolled: 1-line block ×14, first 2 shown]
	v_fma_f32 v174, v92, 2.0, -v176
	v_fma_f32 v175, v93, 2.0, -v177
	;; [unrolled: 1-line block ×14, first 2 shown]
	ds_write_b128 v74, v[174:177]
	ds_write_b128 v80, v[178:181]
	;; [unrolled: 1-line block ×7, first 2 shown]
	s_waitcnt lgkmcnt(0)
	s_barrier
	buffer_gl0_inv
	ds_read2_b64 v[91:94], v91 offset0:116 offset1:242
	ds_read2_b64 v[133:136], v90 offset0:112 offset1:238
	;; [unrolled: 1-line block ×4, first 2 shown]
	ds_read2_b64 v[164:167], v138 offset1:126
	ds_read2_b64 v[168:171], v154 offset0:124 offset1:250
	ds_read2_b64 v[172:175], v89 offset0:120 offset1:246
	s_waitcnt lgkmcnt(0)
	s_barrier
	buffer_gl0_inv
	v_mul_f32_e32 v74, v73, v94
	v_mul_f32_e32 v75, v73, v93
	;; [unrolled: 1-line block ×14, first 2 shown]
	v_fmac_f32_e32 v74, v72, v93
	v_fma_f32 v75, v72, v94, -v75
	v_fmac_f32_e32 v76, v72, v133
	v_fma_f32 v78, v72, v134, -v78
	;; [unrolled: 2-line block ×7, first 2 shown]
	v_sub_f32_e32 v72, v164, v74
	v_sub_f32_e32 v73, v165, v75
	;; [unrolled: 1-line block ×14, first 2 shown]
	v_fma_f32 v158, v164, 2.0, -v72
	v_fma_f32 v159, v165, 2.0, -v73
	;; [unrolled: 1-line block ×14, first 2 shown]
	ds_write2_b64 v83, v[158:159], v[72:73] offset1:2
	ds_write2_b64 v85, v[160:161], v[74:75] offset1:2
	;; [unrolled: 1-line block ×7, first 2 shown]
	s_waitcnt lgkmcnt(0)
	s_barrier
	buffer_gl0_inv
	ds_read2_b64 v[76:79], v138 offset1:126
	ds_read2_b64 v[92:95], v207 offset0:76 offset1:202
	ds_read2_b64 v[88:91], v88 offset0:24 offset1:150
	;; [unrolled: 1-line block ×5, first 2 shown]
	s_and_saveexec_b32 s0, vcc_lo
	s_cbranch_execz .LBB0_11
; %bb.10:
	ds_read_b64 v[133:134], v138 offset:4032
	ds_read_b64 v[135:136], v138 offset:8736
	;; [unrolled: 1-line block ×3, first 2 shown]
.LBB0_11:
	s_or_b32 exec_lo, exec_lo, s0
	s_waitcnt lgkmcnt(4)
	v_mul_f32_e32 v154, v1, v93
	v_mul_f32_e32 v155, v1, v92
	s_waitcnt lgkmcnt(3)
	v_mul_f32_e32 v156, v3, v89
	v_mul_f32_e32 v157, v3, v88
	s_waitcnt lgkmcnt(0)
	v_fmac_f32_e32 v154, v0, v92
	v_fma_f32 v92, v0, v93, -v155
	v_mul_f32_e32 v93, v126, v95
	v_fmac_f32_e32 v156, v2, v88
	v_mul_f32_e32 v88, v126, v94
	v_mul_f32_e32 v126, v128, v91
	v_fma_f32 v89, v2, v89, -v157
	v_fmac_f32_e32 v93, v146, v94
	v_mul_f32_e32 v94, v128, v90
	v_fma_f32 v88, v146, v95, -v88
	v_mul_f32_e32 v95, v1, v85
	v_fmac_f32_e32 v126, v130, v90
	v_mul_f32_e32 v90, v1, v84
	v_fma_f32 v91, v130, v91, -v94
	v_mul_f32_e32 v94, v3, v81
	v_fmac_f32_e32 v95, v0, v84
	v_mul_f32_e32 v84, v3, v80
	v_mul_f32_e32 v130, v1, v136
	;; [unrolled: 1-line block ×3, first 2 shown]
	v_fma_f32 v85, v0, v85, -v90
	v_mul_f32_e32 v90, v129, v87
	v_fmac_f32_e32 v94, v2, v80
	v_mul_f32_e32 v80, v129, v86
	v_fma_f32 v128, v2, v81, -v84
	v_mul_f32_e32 v129, v144, v83
	v_mul_f32_e32 v81, v144, v82
	;; [unrolled: 1-line block ×3, first 2 shown]
	v_fmac_f32_e32 v130, v0, v135
	v_mul_f32_e32 v3, v3, v131
	v_fma_f32 v135, v0, v136, -v1
	v_add_f32_e32 v0, v154, v156
	v_fmac_f32_e32 v90, v125, v86
	v_fma_f32 v125, v125, v87, -v80
	v_fmac_f32_e32 v129, v127, v82
	v_fma_f32 v127, v127, v83, -v81
	v_fmac_f32_e32 v144, v2, v131
	v_add_f32_e32 v1, v76, v154
	v_fma_f32 v131, v2, v132, -v3
	v_add_f32_e32 v3, v92, v89
	v_fma_f32 v0, -0.5, v0, v76
	v_sub_f32_e32 v80, v92, v89
	v_add_f32_e32 v81, v77, v92
	v_add_f32_e32 v2, v1, v156
	v_fma_f32 v1, -0.5, v3, v77
	v_sub_f32_e32 v82, v154, v156
	v_fmamk_f32 v76, v80, 0xbf5db3d7, v0
	v_fmac_f32_e32 v0, 0x3f5db3d7, v80
	v_add_f32_e32 v3, v81, v89
	v_add_f32_e32 v80, v93, v126
	;; [unrolled: 1-line block ×4, first 2 shown]
	v_fmamk_f32 v77, v82, 0x3f5db3d7, v1
	v_fmac_f32_e32 v1, 0xbf5db3d7, v82
	v_add_f32_e32 v82, v88, v91
	v_fma_f32 v78, -0.5, v80, v78
	v_sub_f32_e32 v83, v88, v91
	v_add_f32_e32 v80, v81, v126
	v_add_f32_e32 v81, v79, v88
	v_add_f32_e32 v87, v72, v95
	v_add_f32_e32 v88, v85, v128
	v_fma_f32 v72, -0.5, v86, v72
	v_sub_f32_e32 v89, v85, v128
	v_fmac_f32_e32 v79, -0.5, v82
	v_sub_f32_e32 v84, v93, v126
	v_add_f32_e32 v81, v81, v91
	v_add_f32_e32 v85, v73, v85
	v_fma_f32 v73, -0.5, v88, v73
	v_sub_f32_e32 v88, v95, v94
	v_fmamk_f32 v86, v89, 0xbf5db3d7, v72
	v_fmac_f32_e32 v72, 0x3f5db3d7, v89
	v_add_f32_e32 v89, v90, v129
	v_add_f32_e32 v91, v74, v90
	;; [unrolled: 1-line block ×3, first 2 shown]
	v_fmamk_f32 v82, v83, 0xbf5db3d7, v78
	v_fmac_f32_e32 v78, 0x3f5db3d7, v83
	v_fmamk_f32 v83, v84, 0x3f5db3d7, v79
	v_fmac_f32_e32 v79, 0xbf5db3d7, v84
	v_add_f32_e32 v84, v87, v94
	v_fmamk_f32 v87, v88, 0x3f5db3d7, v73
	v_fmac_f32_e32 v73, 0xbf5db3d7, v88
	v_fma_f32 v74, -0.5, v89, v74
	v_sub_f32_e32 v89, v125, v127
	v_add_f32_e32 v88, v91, v129
	v_add_f32_e32 v91, v75, v125
	v_fmac_f32_e32 v75, -0.5, v92
	v_sub_f32_e32 v92, v90, v129
	v_fmamk_f32 v90, v89, 0xbf5db3d7, v74
	v_fmac_f32_e32 v74, 0x3f5db3d7, v89
	v_add_f32_e32 v89, v91, v127
	v_add_f32_e32 v93, v130, v144
	v_fmamk_f32 v91, v92, 0x3f5db3d7, v75
	v_fmac_f32_e32 v75, 0xbf5db3d7, v92
	v_add_f32_e32 v92, v135, v131
	v_add_f32_e32 v94, v130, v133
	v_fmac_f32_e32 v133, -0.5, v93
	v_sub_f32_e32 v93, v135, v131
	v_add_f32_e32 v95, v135, v134
	v_fmac_f32_e32 v134, -0.5, v92
	v_sub_f32_e32 v125, v130, v144
	v_add_f32_e32 v92, v94, v144
	v_fmamk_f32 v94, v93, 0xbf5db3d7, v133
	v_fmac_f32_e32 v133, 0x3f5db3d7, v93
	v_add_f32_e32 v93, v131, v95
	v_fmamk_f32 v95, v125, 0x3f5db3d7, v134
	v_fmac_f32_e32 v134, 0xbf5db3d7, v125
	v_add_f32_e32 v85, v85, v128
	s_barrier
	buffer_gl0_inv
	ds_write2_b64 v145, v[2:3], v[76:77] offset1:4
	ds_write_b64 v145, v[0:1] offset:64
	ds_write2_b64 v143, v[80:81], v[82:83] offset1:4
	ds_write_b64 v143, v[78:79] offset:64
	;; [unrolled: 2-line block ×4, first 2 shown]
	s_and_saveexec_b32 s0, vcc_lo
	s_cbranch_execz .LBB0_13
; %bb.12:
	v_mul_u32_u24_e32 v0, 12, v140
	v_or_b32_e32 v0, v0, v139
	v_lshlrev_b32_e32 v0, 3, v0
	ds_write2_b64 v0, v[92:93], v[94:95] offset1:4
	ds_write_b64 v0, v[133:134] offset:64
.LBB0_13:
	s_or_b32 exec_lo, exec_lo, s0
	v_add_nc_u32_e32 v72, 0x1000, v138
	v_add_nc_u32_e32 v73, 0x2400, v138
	;; [unrolled: 1-line block ×5, first 2 shown]
	s_waitcnt lgkmcnt(0)
	s_barrier
	buffer_gl0_inv
	ds_read2_b64 v[0:3], v138 offset1:126
	ds_read2_b64 v[88:91], v72 offset0:76 offset1:202
	ds_read2_b64 v[84:87], v73 offset0:24 offset1:150
	;; [unrolled: 1-line block ×5, first 2 shown]
	s_and_saveexec_b32 s0, vcc_lo
	s_cbranch_execz .LBB0_15
; %bb.14:
	ds_read_b64 v[92:93], v138 offset:4032
	ds_read_b64 v[94:95], v138 offset:8736
	;; [unrolled: 1-line block ×3, first 2 shown]
.LBB0_15:
	s_or_b32 exec_lo, exec_lo, s0
	s_waitcnt lgkmcnt(4)
	v_mul_f32_e32 v125, v21, v89
	v_mul_f32_e32 v21, v21, v88
	s_waitcnt lgkmcnt(3)
	v_mul_f32_e32 v126, v23, v85
	v_mul_f32_e32 v23, v23, v84
	s_waitcnt lgkmcnt(0)
	v_fmac_f32_e32 v125, v20, v88
	v_fma_f32 v20, v20, v89, -v21
	v_mul_f32_e32 v21, v17, v91
	v_fmac_f32_e32 v126, v22, v84
	v_mul_f32_e32 v17, v17, v90
	v_fma_f32 v22, v22, v85, -v23
	v_mul_f32_e32 v23, v19, v87
	v_mul_f32_e32 v19, v19, v86
	v_fmac_f32_e32 v21, v16, v90
	v_fma_f32 v16, v16, v91, -v17
	v_mul_f32_e32 v84, v13, v81
	v_mul_f32_e32 v13, v13, v80
	v_fma_f32 v17, v18, v87, -v19
	v_mul_f32_e32 v19, v15, v77
	v_mul_f32_e32 v15, v15, v76
	v_fmac_f32_e32 v23, v18, v86
	v_fmac_f32_e32 v84, v12, v80
	v_fma_f32 v80, v12, v81, -v13
	v_mul_f32_e32 v81, v9, v83
	v_fmac_f32_e32 v19, v14, v76
	v_mul_f32_e32 v9, v9, v82
	v_fma_f32 v76, v14, v77, -v15
	v_mul_f32_e32 v77, v11, v79
	v_mul_f32_e32 v11, v11, v78
	v_fmac_f32_e32 v81, v8, v82
	v_fma_f32 v82, v8, v83, -v9
	v_add_f32_e32 v8, v125, v126
	v_fmac_f32_e32 v77, v10, v78
	v_add_f32_e32 v9, v0, v125
	v_fma_f32 v78, v10, v79, -v11
	v_add_f32_e32 v10, v20, v22
	v_add_f32_e32 v13, v21, v23
	v_fma_f32 v0, -0.5, v8, v0
	v_sub_f32_e32 v11, v20, v22
	v_add_f32_e32 v8, v9, v126
	v_add_f32_e32 v9, v1, v20
	v_fma_f32 v1, -0.5, v10, v1
	v_sub_f32_e32 v12, v125, v126
	;; [unrolled: 4-line block ×3, first 2 shown]
	v_add_f32_e32 v16, v3, v16
	v_fmamk_f32 v10, v11, 0xbf5db3d7, v0
	v_fmac_f32_e32 v0, 0x3f5db3d7, v11
	v_fmamk_f32 v11, v12, 0x3f5db3d7, v1
	v_fmac_f32_e32 v1, 0xbf5db3d7, v12
	v_add_f32_e32 v12, v14, v23
	v_fmac_f32_e32 v3, -0.5, v15
	v_sub_f32_e32 v18, v21, v23
	v_fmamk_f32 v14, v13, 0xbf5db3d7, v2
	v_fmac_f32_e32 v2, 0x3f5db3d7, v13
	v_add_f32_e32 v13, v16, v17
	v_add_f32_e32 v16, v84, v19
	;; [unrolled: 1-line block ×5, first 2 shown]
	v_fmamk_f32 v15, v18, 0x3f5db3d7, v3
	v_fmac_f32_e32 v3, 0xbf5db3d7, v18
	v_fma_f32 v16, -0.5, v16, v72
	v_sub_f32_e32 v21, v80, v76
	v_add_f32_e32 v18, v17, v19
	v_add_f32_e32 v22, v73, v80
	v_fma_f32 v17, -0.5, v20, v73
	v_sub_f32_e32 v23, v84, v19
	v_fmamk_f32 v20, v21, 0xbf5db3d7, v16
	v_fmac_f32_e32 v16, 0x3f5db3d7, v21
	v_add_f32_e32 v19, v22, v76
	v_add_f32_e32 v22, v81, v77
	v_fmamk_f32 v21, v23, 0x3f5db3d7, v17
	v_fmac_f32_e32 v17, 0xbf5db3d7, v23
	v_add_f32_e32 v23, v82, v78
	v_add_f32_e32 v72, v74, v81
	v_fma_f32 v74, -0.5, v22, v74
	v_sub_f32_e32 v73, v82, v78
	v_add_f32_e32 v76, v75, v82
	v_fmac_f32_e32 v75, -0.5, v23
	v_sub_f32_e32 v79, v81, v77
	v_add_f32_e32 v22, v72, v77
	v_fmamk_f32 v72, v73, 0xbf5db3d7, v74
	v_fmac_f32_e32 v74, 0x3f5db3d7, v73
	v_add_f32_e32 v23, v76, v78
	v_fmamk_f32 v73, v79, 0x3f5db3d7, v75
	v_fmac_f32_e32 v75, 0xbf5db3d7, v79
	s_barrier
	buffer_gl0_inv
	ds_write2_b64 v151, v[8:9], v[10:11] offset1:12
	ds_write_b64 v151, v[0:1] offset:192
	ds_write2_b64 v150, v[12:13], v[14:15] offset1:12
	ds_write_b64 v150, v[2:3] offset:192
	;; [unrolled: 2-line block ×4, first 2 shown]
	s_and_saveexec_b32 s0, vcc_lo
	s_cbranch_execz .LBB0_17
; %bb.16:
	v_mul_f32_e32 v0, v7, v133
	v_mul_f32_e32 v1, v5, v94
	;; [unrolled: 1-line block ×4, first 2 shown]
	v_fma_f32 v0, v6, v134, -v0
	v_fma_f32 v1, v4, v95, -v1
	v_fmac_f32_e32 v2, v4, v94
	v_fmac_f32_e32 v3, v6, v133
	v_mov_b32_e32 v4, 3
	v_add_f32_e32 v5, v1, v0
	v_add_f32_e32 v6, v1, v93
	;; [unrolled: 1-line block ×4, first 2 shown]
	v_sub_f32_e32 v2, v2, v3
	v_fmac_f32_e32 v93, -0.5, v5
	v_sub_f32_e32 v5, v1, v0
	v_fmac_f32_e32 v92, -0.5, v7
	v_add_f32_e32 v1, v0, v6
	v_add_f32_e32 v0, v8, v3
	v_fmamk_f32 v3, v2, 0xbf5db3d7, v93
	v_fmac_f32_e32 v93, 0x3f5db3d7, v2
	v_fmamk_f32 v2, v5, 0x3f5db3d7, v92
	v_lshlrev_b32_sdwa v4, v4, v147 dst_sel:DWORD dst_unused:UNUSED_PAD src0_sel:DWORD src1_sel:WORD_0
	v_fmac_f32_e32 v92, 0xbf5db3d7, v5
	ds_write2_b64 v4, v[0:1], v[92:93] offset1:12
	ds_write_b64 v4, v[2:3] offset:192
.LBB0_17:
	s_or_b32 exec_lo, exec_lo, s0
	v_add_nc_u32_e32 v3, 0x400, v138
	v_add_nc_u32_e32 v1, 0xc00, v138
	v_add_nc_u32_e32 v5, 0x1400, v138
	v_add_nc_u32_e32 v4, 0x1c00, v138
	v_add_nc_u32_e32 v2, 0x2400, v138
	s_waitcnt lgkmcnt(0)
	s_barrier
	buffer_gl0_inv
	ds_read2_b64 v[6:9], v3 offset0:124 offset1:250
	ds_read2_b64 v[10:13], v1 offset0:120 offset1:246
	;; [unrolled: 1-line block ×5, first 2 shown]
	v_add_nc_u32_e32 v0, 0x2c00, v138
	ds_read2_b64 v[76:79], v138 offset1:126
	ds_read2_b64 v[80:83], v0 offset0:104 offset1:230
	s_waitcnt lgkmcnt(0)
	s_barrier
	buffer_gl0_inv
	s_mov_b32 s0, 0x5bb804a5
	s_mov_b32 s1, 0x3f429372
	s_mul_hi_u32 s4, s8, 0xffffe860
	s_mul_i32 s5, s9, 0xffffe860
	s_sub_i32 s4, s4, s8
	s_add_i32 s4, s4, s5
	s_mul_i32 s5, s8, 0xffffe860
	v_mul_f32_e32 v22, v45, v7
	v_mul_f32_e32 v23, v45, v6
	;; [unrolled: 1-line block ×8, first 2 shown]
	v_fmac_f32_e32 v22, v44, v6
	v_fma_f32 v6, v44, v7, -v23
	v_fma_f32 v7, v46, v11, -v47
	;; [unrolled: 1-line block ×3, first 2 shown]
	v_mul_f32_e32 v23, v33, v9
	v_mul_f32_e32 v19, v33, v8
	;; [unrolled: 1-line block ×3, first 2 shown]
	v_fmac_f32_e32 v45, v46, v10
	v_fmac_f32_e32 v84, v40, v14
	v_fma_f32 v10, v40, v15, -v41
	v_fmac_f32_e32 v85, v42, v18
	v_mul_f32_e32 v14, v37, v72
	v_mul_f32_e32 v15, v39, v81
	;; [unrolled: 1-line block ×3, first 2 shown]
	v_fmac_f32_e32 v23, v32, v8
	v_fma_f32 v32, v32, v9, -v19
	v_mul_f32_e32 v33, v35, v13
	v_mul_f32_e32 v8, v35, v12
	;; [unrolled: 1-line block ×5, first 2 shown]
	v_fmac_f32_e32 v86, v36, v72
	v_fma_f32 v14, v36, v73, -v14
	v_fmac_f32_e32 v15, v38, v80
	v_fma_f32 v18, v38, v81, -v18
	;; [unrolled: 2-line block ×4, first 2 shown]
	v_fmac_f32_e32 v29, v30, v20
	v_mul_f32_e32 v8, v31, v20
	v_mul_f32_e32 v20, v25, v75
	;; [unrolled: 1-line block ×5, first 2 shown]
	v_fma_f32 v21, v30, v21, -v8
	v_fmac_f32_e32 v20, v24, v74
	v_fma_f32 v24, v24, v75, -v9
	v_fmac_f32_e32 v25, v26, v82
	v_fma_f32 v26, v26, v83, -v12
	v_add_f32_e32 v8, v22, v15
	v_add_f32_e32 v9, v6, v18
	v_sub_f32_e32 v12, v22, v15
	v_add_f32_e32 v13, v45, v86
	v_add_f32_e32 v15, v7, v14
	v_sub_f32_e32 v6, v6, v18
	v_sub_f32_e32 v16, v45, v86
	;; [unrolled: 1-line block ×3, first 2 shown]
	v_add_f32_e32 v14, v84, v85
	v_add_f32_e32 v17, v10, v11
	v_sub_f32_e32 v18, v85, v84
	v_sub_f32_e32 v10, v11, v10
	v_add_f32_e32 v11, v13, v8
	v_add_f32_e32 v19, v15, v9
	v_sub_f32_e32 v22, v13, v8
	v_sub_f32_e32 v27, v15, v9
	;; [unrolled: 1-line block ×6, first 2 shown]
	v_add_f32_e32 v30, v18, v16
	v_add_f32_e32 v31, v10, v7
	v_sub_f32_e32 v36, v18, v16
	v_sub_f32_e32 v37, v10, v7
	;; [unrolled: 1-line block ×3, first 2 shown]
	v_add_f32_e32 v11, v14, v11
	v_add_f32_e32 v14, v17, v19
	v_sub_f32_e32 v18, v12, v18
	v_sub_f32_e32 v10, v6, v10
	;; [unrolled: 1-line block ×3, first 2 shown]
	v_add_f32_e32 v12, v30, v12
	v_add_f32_e32 v19, v31, v6
	;; [unrolled: 1-line block ×4, first 2 shown]
	v_mul_f32_e32 v8, 0x3f4a47b2, v8
	v_mul_f32_e32 v9, 0x3f4a47b2, v9
	;; [unrolled: 1-line block ×8, first 2 shown]
	v_fmamk_f32 v11, v11, 0xbf955555, v6
	v_fmamk_f32 v14, v14, 0xbf955555, v7
	;; [unrolled: 1-line block ×4, first 2 shown]
	v_fma_f32 v30, 0x3f3bfb3b, v22, -v30
	v_fma_f32 v31, 0x3f3bfb3b, v27, -v31
	;; [unrolled: 1-line block ×4, first 2 shown]
	v_fmamk_f32 v22, v18, 0xbeae86e6, v36
	v_fmamk_f32 v27, v10, 0xbeae86e6, v37
	v_fma_f32 v16, 0xbf5ff5aa, v16, -v36
	v_fma_f32 v17, 0xbf5ff5aa, v17, -v37
	;; [unrolled: 1-line block ×4, first 2 shown]
	v_add_f32_e32 v37, v13, v11
	v_add_f32_e32 v38, v15, v14
	;; [unrolled: 1-line block ×5, first 2 shown]
	v_fmac_f32_e32 v22, 0xbee1c552, v12
	v_fmac_f32_e32 v27, 0xbee1c552, v19
	;; [unrolled: 1-line block ×5, first 2 shown]
	v_add_f32_e32 v31, v8, v11
	v_fmac_f32_e32 v36, 0xbee1c552, v19
	v_add_f32_e32 v8, v27, v37
	v_sub_f32_e32 v9, v38, v22
	v_sub_f32_e32 v11, v39, v18
	;; [unrolled: 1-line block ×3, first 2 shown]
	v_add_f32_e32 v13, v16, v30
	v_add_f32_e32 v14, v17, v15
	v_sub_f32_e32 v15, v30, v16
	v_add_f32_e32 v17, v18, v39
	v_sub_f32_e32 v18, v37, v27
	v_add_f32_e32 v19, v22, v38
	v_add_f32_e32 v22, v23, v25
	;; [unrolled: 1-line block ×3, first 2 shown]
	v_sub_f32_e32 v23, v23, v25
	v_sub_f32_e32 v25, v32, v26
	v_add_f32_e32 v26, v33, v20
	v_add_f32_e32 v30, v34, v24
	;; [unrolled: 1-line block ×3, first 2 shown]
	v_sub_f32_e32 v16, v31, v36
	v_sub_f32_e32 v20, v33, v20
	;; [unrolled: 1-line block ×3, first 2 shown]
	v_add_f32_e32 v31, v35, v29
	v_add_f32_e32 v32, v28, v21
	v_sub_f32_e32 v29, v29, v35
	v_sub_f32_e32 v21, v21, v28
	v_add_f32_e32 v28, v26, v22
	v_add_f32_e32 v33, v30, v27
	v_sub_f32_e32 v34, v26, v22
	v_sub_f32_e32 v35, v30, v27
	;; [unrolled: 1-line block ×6, first 2 shown]
	v_add_f32_e32 v36, v29, v20
	v_add_f32_e32 v37, v21, v24
	v_sub_f32_e32 v38, v29, v20
	v_sub_f32_e32 v39, v21, v24
	;; [unrolled: 1-line block ×3, first 2 shown]
	v_add_f32_e32 v28, v31, v28
	v_add_f32_e32 v31, v32, v33
	v_sub_f32_e32 v24, v24, v25
	v_sub_f32_e32 v29, v23, v29
	;; [unrolled: 1-line block ×3, first 2 shown]
	v_add_f32_e32 v23, v36, v23
	v_add_f32_e32 v25, v37, v25
	;; [unrolled: 1-line block ×4, first 2 shown]
	v_mul_f32_e32 v22, 0x3f4a47b2, v22
	v_mul_f32_e32 v27, 0x3f4a47b2, v27
	;; [unrolled: 1-line block ×8, first 2 shown]
	v_fmamk_f32 v28, v28, 0xbf955555, v20
	v_fmamk_f32 v31, v31, 0xbf955555, v21
	;; [unrolled: 1-line block ×4, first 2 shown]
	v_fma_f32 v32, 0x3f3bfb3b, v34, -v32
	v_fma_f32 v33, 0x3f3bfb3b, v35, -v33
	;; [unrolled: 1-line block ×4, first 2 shown]
	v_fmamk_f32 v34, v29, 0xbeae86e6, v36
	v_fmamk_f32 v35, v40, 0xbeae86e6, v37
	v_fma_f32 v36, 0xbf5ff5aa, v41, -v36
	v_fma_f32 v37, 0xbf5ff5aa, v24, -v37
	;; [unrolled: 1-line block ×4, first 2 shown]
	v_add_f32_e32 v40, v26, v28
	v_add_f32_e32 v41, v30, v31
	;; [unrolled: 1-line block ×6, first 2 shown]
	v_fmac_f32_e32 v34, 0xbee1c552, v23
	v_fmac_f32_e32 v35, 0xbee1c552, v25
	;; [unrolled: 1-line block ×6, first 2 shown]
	v_add_f32_e32 v22, v35, v40
	v_sub_f32_e32 v23, v41, v34
	v_add_f32_e32 v24, v39, v32
	v_sub_f32_e32 v25, v31, v38
	v_sub_f32_e32 v26, v29, v37
	v_add_f32_e32 v27, v36, v30
	v_add_f32_e32 v28, v37, v29
	v_sub_f32_e32 v29, v30, v36
	v_sub_f32_e32 v30, v32, v39
	v_add_f32_e32 v31, v38, v31
	v_sub_f32_e32 v32, v40, v35
	v_add_f32_e32 v33, v34, v41
	ds_write2_b64 v153, v[6:7], v[8:9] offset1:36
	ds_write2_b64 v153, v[10:11], v[12:13] offset0:72 offset1:108
	ds_write2_b64 v153, v[14:15], v[16:17] offset0:144 offset1:180
	ds_write_b64 v153, v[18:19] offset:1728
	ds_write2_b64 v152, v[20:21], v[22:23] offset1:36
	ds_write2_b64 v152, v[24:25], v[26:27] offset0:72 offset1:108
	ds_write2_b64 v152, v[28:29], v[30:31] offset0:144 offset1:180
	ds_write_b64 v152, v[32:33] offset:1728
	s_waitcnt lgkmcnt(0)
	s_barrier
	buffer_gl0_inv
	ds_read2_b64 v[6:9], v3 offset0:124 offset1:250
	ds_read2_b64 v[10:13], v1 offset0:120 offset1:246
	;; [unrolled: 1-line block ×6, first 2 shown]
	ds_read2_b64 v[30:33], v138 offset1:126
	s_waitcnt lgkmcnt(6)
	v_mul_f32_e32 v34, v61, v7
	v_mul_f32_e32 v35, v61, v6
	s_waitcnt lgkmcnt(5)
	v_mul_f32_e32 v36, v63, v11
	v_mul_f32_e32 v37, v63, v10
	s_waitcnt lgkmcnt(2)
	v_mul_f32_e32 v38, v65, v23
	v_fmac_f32_e32 v34, v60, v6
	v_fma_f32 v6, v60, v7, -v35
	v_fmac_f32_e32 v36, v62, v10
	v_fma_f32 v7, v62, v11, -v37
	v_mul_f32_e32 v10, v69, v15
	v_mul_f32_e32 v11, v69, v14
	;; [unrolled: 1-line block ×4, first 2 shown]
	v_fmac_f32_e32 v38, v64, v22
	v_fmac_f32_e32 v10, v68, v14
	v_fma_f32 v11, v68, v15, -v11
	v_fma_f32 v14, v70, v19, -v37
	v_mul_f32_e32 v15, v65, v22
	v_mul_f32_e32 v22, v57, v9
	;; [unrolled: 1-line block ×3, first 2 shown]
	v_fmac_f32_e32 v35, v70, v18
	s_waitcnt lgkmcnt(1)
	v_mul_f32_e32 v18, v67, v27
	v_mul_f32_e32 v19, v67, v26
	v_fma_f32 v15, v64, v23, -v15
	v_fmac_f32_e32 v22, v56, v8
	v_fma_f32 v23, v56, v9, -v37
	v_mul_f32_e32 v8, v59, v12
	v_mul_f32_e32 v9, v53, v16
	;; [unrolled: 1-line block ×3, first 2 shown]
	v_fmac_f32_e32 v18, v66, v26
	v_fma_f32 v19, v66, v27, -v19
	v_mul_f32_e32 v26, v59, v13
	v_mul_f32_e32 v27, v53, v17
	v_fma_f32 v39, v58, v13, -v8
	v_fma_f32 v40, v52, v17, -v9
	v_fmac_f32_e32 v37, v54, v20
	v_mul_f32_e32 v8, v55, v20
	v_mul_f32_e32 v20, v49, v25
	;; [unrolled: 1-line block ×3, first 2 shown]
	v_fmac_f32_e32 v26, v58, v12
	v_fmac_f32_e32 v27, v52, v16
	v_mul_f32_e32 v12, v51, v28
	v_fma_f32 v21, v54, v21, -v8
	v_fmac_f32_e32 v20, v48, v24
	v_fma_f32 v24, v48, v25, -v9
	v_add_f32_e32 v8, v34, v18
	v_add_f32_e32 v9, v6, v19
	;; [unrolled: 1-line block ×4, first 2 shown]
	v_mul_f32_e32 v41, v51, v29
	v_fma_f32 v25, v50, v29, -v12
	v_sub_f32_e32 v12, v34, v18
	v_sub_f32_e32 v6, v6, v19
	;; [unrolled: 1-line block ×4, first 2 shown]
	v_add_f32_e32 v15, v10, v35
	v_add_f32_e32 v18, v11, v14
	v_sub_f32_e32 v10, v35, v10
	v_sub_f32_e32 v11, v14, v11
	v_add_f32_e32 v14, v13, v8
	v_add_f32_e32 v19, v16, v9
	v_fmac_f32_e32 v41, v50, v28
	v_sub_f32_e32 v28, v13, v8
	v_sub_f32_e32 v29, v16, v9
	v_sub_f32_e32 v8, v8, v15
	v_sub_f32_e32 v9, v9, v18
	v_sub_f32_e32 v13, v15, v13
	v_sub_f32_e32 v16, v18, v16
	v_add_f32_e32 v34, v10, v17
	v_add_f32_e32 v35, v11, v7
	v_sub_f32_e32 v36, v10, v17
	v_sub_f32_e32 v38, v11, v7
	v_add_f32_e32 v14, v15, v14
	v_add_f32_e32 v15, v18, v19
	v_sub_f32_e32 v10, v12, v10
	v_sub_f32_e32 v11, v6, v11
	;; [unrolled: 1-line block ×4, first 2 shown]
	v_add_f32_e32 v12, v34, v12
	v_add_f32_e32 v19, v35, v6
	s_waitcnt lgkmcnt(0)
	v_add_f32_e32 v6, v30, v14
	v_add_f32_e32 v7, v31, v15
	v_mul_f32_e32 v8, 0x3f4a47b2, v8
	v_mul_f32_e32 v9, 0x3f4a47b2, v9
	;; [unrolled: 1-line block ×8, first 2 shown]
	v_fmamk_f32 v14, v14, 0xbf955555, v6
	v_fmamk_f32 v15, v15, 0xbf955555, v7
	;; [unrolled: 1-line block ×4, first 2 shown]
	v_fma_f32 v30, 0x3f3bfb3b, v28, -v30
	v_fma_f32 v31, 0x3f3bfb3b, v29, -v31
	v_fma_f32 v8, 0xbf3bfb3b, v28, -v8
	v_fma_f32 v9, 0xbf3bfb3b, v29, -v9
	v_fmamk_f32 v28, v10, 0xbeae86e6, v34
	v_fmamk_f32 v29, v11, 0xbeae86e6, v35
	v_fma_f32 v17, 0xbf5ff5aa, v17, -v34
	v_fma_f32 v18, 0xbf5ff5aa, v18, -v35
	;; [unrolled: 1-line block ×4, first 2 shown]
	v_add_f32_e32 v36, v13, v14
	v_add_f32_e32 v38, v16, v15
	;; [unrolled: 1-line block ×4, first 2 shown]
	v_fmac_f32_e32 v28, 0xbee1c552, v12
	v_fmac_f32_e32 v29, 0xbee1c552, v19
	;; [unrolled: 1-line block ×4, first 2 shown]
	v_add_f32_e32 v31, v8, v14
	v_add_f32_e32 v42, v9, v15
	v_fmac_f32_e32 v35, 0xbee1c552, v19
	v_fmac_f32_e32 v34, 0xbee1c552, v12
	v_add_f32_e32 v8, v29, v36
	v_sub_f32_e32 v9, v38, v28
	v_sub_f32_e32 v12, v16, v18
	v_add_f32_e32 v13, v17, v30
	v_add_f32_e32 v14, v18, v16
	v_sub_f32_e32 v15, v30, v17
	v_sub_f32_e32 v18, v36, v29
	v_add_f32_e32 v19, v28, v38
	v_add_f32_e32 v28, v22, v41
	;; [unrolled: 1-line block ×3, first 2 shown]
	v_sub_f32_e32 v23, v23, v25
	v_add_f32_e32 v25, v26, v20
	v_add_f32_e32 v30, v39, v24
	;; [unrolled: 1-line block ×3, first 2 shown]
	v_sub_f32_e32 v11, v42, v34
	v_sub_f32_e32 v16, v31, v35
	v_add_f32_e32 v17, v34, v42
	v_sub_f32_e32 v22, v22, v41
	v_sub_f32_e32 v20, v26, v20
	v_sub_f32_e32 v24, v39, v24
	v_add_f32_e32 v26, v27, v37
	v_add_f32_e32 v31, v40, v21
	v_sub_f32_e32 v27, v37, v27
	v_sub_f32_e32 v21, v21, v40
	v_add_f32_e32 v34, v25, v28
	v_add_f32_e32 v35, v30, v29
	v_sub_f32_e32 v36, v25, v28
	v_sub_f32_e32 v37, v30, v29
	;; [unrolled: 1-line block ×6, first 2 shown]
	v_add_f32_e32 v38, v27, v20
	v_add_f32_e32 v39, v21, v24
	v_sub_f32_e32 v40, v27, v20
	v_sub_f32_e32 v41, v21, v24
	;; [unrolled: 1-line block ×3, first 2 shown]
	v_add_f32_e32 v26, v26, v34
	v_add_f32_e32 v31, v31, v35
	v_sub_f32_e32 v24, v24, v23
	v_sub_f32_e32 v27, v22, v27
	;; [unrolled: 1-line block ×3, first 2 shown]
	v_add_f32_e32 v22, v38, v22
	v_add_f32_e32 v23, v39, v23
	;; [unrolled: 1-line block ×4, first 2 shown]
	v_mul_f32_e32 v28, 0x3f4a47b2, v28
	v_mul_f32_e32 v29, 0x3f4a47b2, v29
	;; [unrolled: 1-line block ×8, first 2 shown]
	v_fmamk_f32 v26, v26, 0xbf955555, v20
	v_fmamk_f32 v31, v31, 0xbf955555, v21
	;; [unrolled: 1-line block ×4, first 2 shown]
	v_fma_f32 v32, 0x3f3bfb3b, v36, -v32
	v_fma_f32 v33, 0x3f3bfb3b, v37, -v33
	;; [unrolled: 1-line block ×4, first 2 shown]
	v_fmamk_f32 v36, v27, 0xbeae86e6, v34
	v_fmamk_f32 v37, v42, 0xbeae86e6, v35
	v_fma_f32 v34, 0xbf5ff5aa, v43, -v34
	v_fma_f32 v35, 0xbf5ff5aa, v24, -v35
	;; [unrolled: 1-line block ×4, first 2 shown]
	v_add_f32_e32 v40, v25, v26
	v_add_f32_e32 v41, v30, v31
	;; [unrolled: 1-line block ×6, first 2 shown]
	v_fmac_f32_e32 v36, 0xbee1c552, v22
	v_fmac_f32_e32 v37, 0xbee1c552, v23
	;; [unrolled: 1-line block ×6, first 2 shown]
	v_add_f32_e32 v22, v37, v40
	v_sub_f32_e32 v23, v41, v36
	v_add_f32_e32 v24, v39, v33
	v_sub_f32_e32 v25, v31, v38
	v_sub_f32_e32 v26, v30, v35
	v_add_f32_e32 v27, v34, v32
	v_add_f32_e32 v28, v35, v30
	v_sub_f32_e32 v29, v32, v34
	v_sub_f32_e32 v30, v33, v39
	v_add_f32_e32 v31, v38, v31
	v_sub_f32_e32 v32, v40, v37
	v_add_f32_e32 v33, v36, v41
	ds_write_b64 v138, v[8:9] offset:2016
	ds_write_b64 v138, v[10:11] offset:4032
	;; [unrolled: 1-line block ×6, first 2 shown]
	ds_write2_b64 v138, v[6:7], v[20:21] offset1:126
	ds_write_b64 v138, v[22:23] offset:3024
	ds_write_b64 v138, v[24:25] offset:5040
	;; [unrolled: 1-line block ×6, first 2 shown]
	s_waitcnt lgkmcnt(0)
	s_barrier
	buffer_gl0_inv
	ds_read2_b64 v[6:9], v138 offset1:126
	ds_read2_b64 v[10:13], v5 offset0:116 offset1:242
	v_mad_u64_u32 v[16:17], null, s10, v96, 0
	s_waitcnt lgkmcnt(1)
	v_mul_f32_e32 v14, v114, v7
	v_mul_f32_e32 v15, v114, v6
	s_waitcnt lgkmcnt(0)
	v_mul_f32_e32 v20, v124, v12
	v_mul_f32_e32 v27, v112, v9
	;; [unrolled: 1-line block ×3, first 2 shown]
	v_fmac_f32_e32 v14, v113, v6
	v_fma_f32 v7, v113, v7, -v15
	v_mul_f32_e32 v37, v102, v10
	v_fmac_f32_e32 v27, v111, v8
	v_fmac_f32_e32 v36, v101, v10
	v_cvt_f64_f32_e32 v[5:6], v14
	v_cvt_f64_f32_e32 v[14:15], v7
	v_mul_f32_e32 v7, v124, v13
	v_fma_f32 v10, v101, v11, -v37
	v_fmac_f32_e32 v7, v123, v12
	v_cvt_f64_f32_e32 v[10:11], v10
	v_mul_f64 v[18:19], v[5:6], s[0:1]
	v_fma_f32 v5, v123, v13, -v20
	v_cvt_f64_f32_e32 v[12:13], v7
	v_mul_f64 v[14:15], v[14:15], s[0:1]
	v_mad_u64_u32 v[20:21], null, s8, v137, 0
	v_cvt_f64_f32_e32 v[22:23], v5
	ds_read2_b64 v[4:7], v4 offset0:112 offset1:238
	v_mul_f64 v[10:11], v[10:11], s[0:1]
	v_mad_u64_u32 v[24:25], null, s11, v96, v[17:18]
	v_cvt_f32_f64_e32 v18, v[18:19]
	v_cvt_f32_f64_e32 v19, v[14:15]
	s_waitcnt lgkmcnt(0)
	v_mul_f32_e32 v29, v122, v5
	v_mul_f32_e32 v32, v120, v7
	v_mov_b32_e32 v17, v24
	v_mad_u64_u32 v[24:25], null, s9, v137, v[21:22]
	v_mul_f32_e32 v21, v112, v8
	v_mul_f64 v[25:26], v[12:13], s[0:1]
	v_fmac_f32_e32 v29, v121, v4
	v_lshlrev_b64 v[16:17], 3, v[16:17]
	v_fmac_f32_e32 v32, v119, v6
	v_fma_f32 v12, v111, v9, -v21
	v_mov_b32_e32 v21, v24
	v_mul_f32_e32 v24, v122, v4
	v_mul_f64 v[8:9], v[22:23], s[0:1]
	v_cvt_f64_f32_e32 v[22:23], v27
	v_cvt_f64_f32_e32 v[27:28], v12
	ds_read2_b64 v[12:15], v3 offset0:124 offset1:250
	v_cvt_f64_f32_e32 v[3:4], v29
	v_fma_f32 v5, v121, v5, -v24
	v_add_co_u32 v24, vcc_lo, s2, v16
	v_add_co_ci_u32_e32 v29, vcc_lo, s3, v17, vcc_lo
	v_cvt_f64_f32_e32 v[16:17], v5
	v_lshlrev_b64 v[20:21], 3, v[20:21]
	s_mul_i32 s2, s9, 0x1b90
	s_mul_hi_u32 s3, s8, 0x1b90
	s_add_i32 s2, s3, s2
	s_mul_i32 s3, s8, 0x1b90
	v_add_co_u32 v20, vcc_lo, v24, v20
	v_cvt_f32_f64_e32 v24, v[25:26]
	v_add_co_ci_u32_e32 v21, vcc_lo, v29, v21, vcc_lo
	v_cvt_f32_f64_e32 v25, v[8:9]
	s_waitcnt lgkmcnt(0)
	v_mul_f32_e32 v5, v108, v13
	v_mul_f32_e32 v30, v108, v12
	v_mul_f64 v[8:9], v[22:23], s[0:1]
	v_mul_f64 v[22:23], v[27:28], s[0:1]
	;; [unrolled: 1-line block ×3, first 2 shown]
	v_fmac_f32_e32 v5, v107, v12
	v_fma_f32 v3, v107, v13, -v30
	v_mul_f32_e32 v4, v120, v6
	v_add_co_u32 v26, vcc_lo, v20, s3
	v_mul_f64 v[12:13], v[16:17], s[0:1]
	v_cvt_f64_f32_e32 v[16:17], v5
	v_cvt_f64_f32_e32 v[30:31], v3
	v_add_co_ci_u32_e32 v27, vcc_lo, s2, v21, vcc_lo
	v_fma_f32 v3, v119, v7, -v4
	v_cvt_f64_f32_e32 v[6:7], v32
	global_store_dwordx2 v[20:21], v[18:19], off
	global_store_dwordx2 v[26:27], v[24:25], off
	v_cvt_f64_f32_e32 v[18:19], v3
	ds_read2_b64 v[2:5], v2 offset0:108 offset1:234
	v_cvt_f32_f64_e32 v20, v[8:9]
	v_cvt_f32_f64_e32 v21, v[22:23]
	;; [unrolled: 1-line block ×3, first 2 shown]
	v_mul_f32_e32 v8, v118, v15
	v_add_co_u32 v22, vcc_lo, v26, s5
	v_add_co_ci_u32_e32 v23, vcc_lo, s4, v27, vcc_lo
	v_cvt_f32_f64_e32 v25, v[12:13]
	v_mul_f64 v[12:13], v[16:17], s[0:1]
	v_mul_f64 v[16:17], v[30:31], s[0:1]
	v_fmac_f32_e32 v8, v117, v14
	v_mul_f64 v[26:27], v[6:7], s[0:1]
	v_mul_f32_e32 v6, v118, v14
	v_cvt_f64_f32_e32 v[28:29], v8
	s_waitcnt lgkmcnt(0)
	v_mul_f32_e32 v30, v116, v3
	v_mul_f32_e32 v14, v116, v2
	v_fma_f32 v15, v117, v15, -v6
	ds_read2_b64 v[6:9], v1 offset0:120 offset1:246
	v_add_co_u32 v1, vcc_lo, v22, s3
	v_fmac_f32_e32 v30, v115, v2
	v_fma_f32 v3, v115, v3, -v14
	v_add_co_ci_u32_e32 v2, vcc_lo, s2, v23, vcc_lo
	global_store_dwordx2 v[22:23], v[20:21], off
	v_cvt_f64_f32_e32 v[14:15], v15
	v_cvt_f64_f32_e32 v[20:21], v30
	v_cvt_f32_f64_e32 v12, v[12:13]
	v_cvt_f32_f64_e32 v13, v[16:17]
	v_add_co_u32 v16, vcc_lo, v1, s5
	v_cvt_f64_f32_e32 v[22:23], v3
	global_store_dwordx2 v[1:2], v[24:25], off
	v_add_co_ci_u32_e32 v17, vcc_lo, s4, v2, vcc_lo
	ds_read2_b64 v[0:3], v0 offset0:104 offset1:230
	v_mul_f64 v[18:19], v[18:19], s[0:1]
	s_waitcnt lgkmcnt(1)
	v_mul_f32_e32 v30, v106, v7
	v_mul_f32_e32 v31, v106, v6
	v_cvt_f32_f64_e32 v24, v[26:27]
	v_mul_f64 v[26:27], v[28:29], s[0:1]
	v_mul_f32_e32 v32, v100, v9
	v_fmac_f32_e32 v30, v105, v6
	v_fma_f32 v28, v105, v7, -v31
	v_mul_f32_e32 v31, v110, v4
	v_mul_f32_e32 v33, v100, v8
	v_fmac_f32_e32 v32, v99, v8
	v_mul_f64 v[6:7], v[14:15], s[0:1]
	v_mul_f64 v[14:15], v[20:21], s[0:1]
	v_cvt_f64_f32_e32 v[28:29], v28
	v_fma_f32 v31, v109, v5, -v31
	v_fma_f32 v33, v99, v9, -v33
	v_mul_f64 v[20:21], v[22:23], s[0:1]
	v_cvt_f64_f32_e32 v[22:23], v30
	s_waitcnt lgkmcnt(0)
	v_mul_f32_e32 v34, v98, v1
	v_mul_f32_e32 v30, v110, v5
	;; [unrolled: 1-line block ×4, first 2 shown]
	v_cvt_f32_f64_e32 v25, v[18:19]
	v_fmac_f32_e32 v34, v97, v0
	v_mul_f32_e32 v0, v98, v0
	v_fmac_f32_e32 v30, v109, v4
	v_cvt_f64_f32_e32 v[8:9], v31
	v_fmac_f32_e32 v38, v103, v2
	v_fma_f32 v39, v103, v3, -v39
	v_fma_f32 v0, v97, v1, -v0
	v_cvt_f64_f32_e32 v[4:5], v30
	v_cvt_f64_f32_e32 v[30:31], v32
	;; [unrolled: 1-line block ×8, first 2 shown]
	v_add_co_u32 v18, vcc_lo, v16, s3
	v_add_co_ci_u32_e32 v19, vcc_lo, s2, v17, vcc_lo
	global_store_dwordx2 v[16:17], v[12:13], off
	global_store_dwordx2 v[18:19], v[24:25], off
	v_cvt_f32_f64_e32 v13, v[6:7]
	v_mul_f64 v[6:7], v[22:23], s[0:1]
	v_mul_f64 v[16:17], v[28:29], s[0:1]
	;; [unrolled: 1-line block ×3, first 2 shown]
	v_cvt_f32_f64_e32 v14, v[14:15]
	v_cvt_f32_f64_e32 v15, v[20:21]
	;; [unrolled: 1-line block ×3, first 2 shown]
	v_mul_f64 v[4:5], v[4:5], s[0:1]
	v_mul_f64 v[20:21], v[30:31], s[0:1]
	v_mul_f64 v[22:23], v[32:33], s[0:1]
	v_mul_f64 v[24:25], v[34:35], s[0:1]
	v_mul_f64 v[0:1], v[0:1], s[0:1]
	v_mul_f64 v[2:3], v[2:3], s[0:1]
	v_mul_f64 v[26:27], v[36:37], s[0:1]
	v_mul_f64 v[28:29], v[38:39], s[0:1]
	v_add_co_u32 v18, vcc_lo, v18, s5
	v_add_co_ci_u32_e32 v19, vcc_lo, s4, v19, vcc_lo
	v_add_co_u32 v30, vcc_lo, v18, s3
	v_add_co_ci_u32_e32 v31, vcc_lo, s2, v19, vcc_lo
	v_cvt_f32_f64_e32 v6, v[6:7]
	v_cvt_f32_f64_e32 v7, v[16:17]
	v_add_co_u32 v16, vcc_lo, v30, s5
	v_add_co_ci_u32_e32 v17, vcc_lo, s4, v31, vcc_lo
	v_cvt_f32_f64_e32 v4, v[4:5]
	v_cvt_f32_f64_e32 v5, v[8:9]
	;; [unrolled: 4-line block ×3, first 2 shown]
	v_cvt_f32_f64_e32 v22, v[24:25]
	v_cvt_f32_f64_e32 v23, v[0:1]
	;; [unrolled: 1-line block ×6, first 2 shown]
	v_add_co_u32 v10, vcc_lo, v8, s5
	v_add_co_ci_u32_e32 v11, vcc_lo, s4, v9, vcc_lo
	global_store_dwordx2 v[18:19], v[12:13], off
	v_add_co_u32 v12, vcc_lo, v10, s3
	v_add_co_ci_u32_e32 v13, vcc_lo, s2, v11, vcc_lo
	global_store_dwordx2 v[30:31], v[14:15], off
	;; [unrolled: 3-line block ×4, first 2 shown]
	global_store_dwordx2 v[10:11], v[20:21], off
	global_store_dwordx2 v[12:13], v[22:23], off
	;; [unrolled: 1-line block ×4, first 2 shown]
.LBB0_18:
	s_endpgm
	.section	.rodata,"a",@progbits
	.p2align	6, 0x0
	.amdhsa_kernel bluestein_single_back_len1764_dim1_sp_op_CI_CI
		.amdhsa_group_segment_fixed_size 14112
		.amdhsa_private_segment_fixed_size 0
		.amdhsa_kernarg_size 104
		.amdhsa_user_sgpr_count 6
		.amdhsa_user_sgpr_private_segment_buffer 1
		.amdhsa_user_sgpr_dispatch_ptr 0
		.amdhsa_user_sgpr_queue_ptr 0
		.amdhsa_user_sgpr_kernarg_segment_ptr 1
		.amdhsa_user_sgpr_dispatch_id 0
		.amdhsa_user_sgpr_flat_scratch_init 0
		.amdhsa_user_sgpr_private_segment_size 0
		.amdhsa_wavefront_size32 1
		.amdhsa_uses_dynamic_stack 0
		.amdhsa_system_sgpr_private_segment_wavefront_offset 0
		.amdhsa_system_sgpr_workgroup_id_x 1
		.amdhsa_system_sgpr_workgroup_id_y 0
		.amdhsa_system_sgpr_workgroup_id_z 0
		.amdhsa_system_sgpr_workgroup_info 0
		.amdhsa_system_vgpr_workitem_id 0
		.amdhsa_next_free_vgpr 216
		.amdhsa_next_free_sgpr 20
		.amdhsa_reserve_vcc 1
		.amdhsa_reserve_flat_scratch 0
		.amdhsa_float_round_mode_32 0
		.amdhsa_float_round_mode_16_64 0
		.amdhsa_float_denorm_mode_32 3
		.amdhsa_float_denorm_mode_16_64 3
		.amdhsa_dx10_clamp 1
		.amdhsa_ieee_mode 1
		.amdhsa_fp16_overflow 0
		.amdhsa_workgroup_processor_mode 1
		.amdhsa_memory_ordered 1
		.amdhsa_forward_progress 0
		.amdhsa_shared_vgpr_count 0
		.amdhsa_exception_fp_ieee_invalid_op 0
		.amdhsa_exception_fp_denorm_src 0
		.amdhsa_exception_fp_ieee_div_zero 0
		.amdhsa_exception_fp_ieee_overflow 0
		.amdhsa_exception_fp_ieee_underflow 0
		.amdhsa_exception_fp_ieee_inexact 0
		.amdhsa_exception_int_div_zero 0
	.end_amdhsa_kernel
	.text
.Lfunc_end0:
	.size	bluestein_single_back_len1764_dim1_sp_op_CI_CI, .Lfunc_end0-bluestein_single_back_len1764_dim1_sp_op_CI_CI
                                        ; -- End function
	.section	.AMDGPU.csdata,"",@progbits
; Kernel info:
; codeLenInByte = 14780
; NumSgprs: 22
; NumVgprs: 216
; ScratchSize: 0
; MemoryBound: 0
; FloatMode: 240
; IeeeMode: 1
; LDSByteSize: 14112 bytes/workgroup (compile time only)
; SGPRBlocks: 2
; VGPRBlocks: 26
; NumSGPRsForWavesPerEU: 22
; NumVGPRsForWavesPerEU: 216
; Occupancy: 4
; WaveLimiterHint : 1
; COMPUTE_PGM_RSRC2:SCRATCH_EN: 0
; COMPUTE_PGM_RSRC2:USER_SGPR: 6
; COMPUTE_PGM_RSRC2:TRAP_HANDLER: 0
; COMPUTE_PGM_RSRC2:TGID_X_EN: 1
; COMPUTE_PGM_RSRC2:TGID_Y_EN: 0
; COMPUTE_PGM_RSRC2:TGID_Z_EN: 0
; COMPUTE_PGM_RSRC2:TIDIG_COMP_CNT: 0
	.text
	.p2alignl 6, 3214868480
	.fill 48, 4, 3214868480
	.type	__hip_cuid_9545655b3085994c,@object ; @__hip_cuid_9545655b3085994c
	.section	.bss,"aw",@nobits
	.globl	__hip_cuid_9545655b3085994c
__hip_cuid_9545655b3085994c:
	.byte	0                               ; 0x0
	.size	__hip_cuid_9545655b3085994c, 1

	.ident	"AMD clang version 19.0.0git (https://github.com/RadeonOpenCompute/llvm-project roc-6.4.0 25133 c7fe45cf4b819c5991fe208aaa96edf142730f1d)"
	.section	".note.GNU-stack","",@progbits
	.addrsig
	.addrsig_sym __hip_cuid_9545655b3085994c
	.amdgpu_metadata
---
amdhsa.kernels:
  - .args:
      - .actual_access:  read_only
        .address_space:  global
        .offset:         0
        .size:           8
        .value_kind:     global_buffer
      - .actual_access:  read_only
        .address_space:  global
        .offset:         8
        .size:           8
        .value_kind:     global_buffer
      - .actual_access:  read_only
        .address_space:  global
        .offset:         16
        .size:           8
        .value_kind:     global_buffer
      - .actual_access:  read_only
        .address_space:  global
        .offset:         24
        .size:           8
        .value_kind:     global_buffer
      - .actual_access:  read_only
        .address_space:  global
        .offset:         32
        .size:           8
        .value_kind:     global_buffer
      - .offset:         40
        .size:           8
        .value_kind:     by_value
      - .address_space:  global
        .offset:         48
        .size:           8
        .value_kind:     global_buffer
      - .address_space:  global
        .offset:         56
        .size:           8
        .value_kind:     global_buffer
      - .address_space:  global
        .offset:         64
        .size:           8
        .value_kind:     global_buffer
      - .address_space:  global
        .offset:         72
        .size:           8
        .value_kind:     global_buffer
      - .offset:         80
        .size:           4
        .value_kind:     by_value
      - .address_space:  global
        .offset:         88
        .size:           8
        .value_kind:     global_buffer
      - .address_space:  global
        .offset:         96
        .size:           8
        .value_kind:     global_buffer
    .group_segment_fixed_size: 14112
    .kernarg_segment_align: 8
    .kernarg_segment_size: 104
    .language:       OpenCL C
    .language_version:
      - 2
      - 0
    .max_flat_workgroup_size: 126
    .name:           bluestein_single_back_len1764_dim1_sp_op_CI_CI
    .private_segment_fixed_size: 0
    .sgpr_count:     22
    .sgpr_spill_count: 0
    .symbol:         bluestein_single_back_len1764_dim1_sp_op_CI_CI.kd
    .uniform_work_group_size: 1
    .uses_dynamic_stack: false
    .vgpr_count:     216
    .vgpr_spill_count: 0
    .wavefront_size: 32
    .workgroup_processor_mode: 1
amdhsa.target:   amdgcn-amd-amdhsa--gfx1030
amdhsa.version:
  - 1
  - 2
...

	.end_amdgpu_metadata
